;; amdgpu-corpus repo=zjin-lcf/HeCBench kind=compiled arch=gfx906 opt=O3
	.amdgcn_target "amdgcn-amd-amdhsa--gfx906"
	.amdhsa_code_object_version 6
	.section	.text._Z11contractionIfEvPKT_S2_PS0_iii,"axG",@progbits,_Z11contractionIfEvPKT_S2_PS0_iii,comdat
	.protected	_Z11contractionIfEvPKT_S2_PS0_iii ; -- Begin function _Z11contractionIfEvPKT_S2_PS0_iii
	.globl	_Z11contractionIfEvPKT_S2_PS0_iii
	.p2align	8
	.type	_Z11contractionIfEvPKT_S2_PS0_iii,@function
_Z11contractionIfEvPKT_S2_PS0_iii:      ; @_Z11contractionIfEvPKT_S2_PS0_iii
; %bb.0:
	s_load_dword s7, s[4:5], 0x34
	s_load_dwordx4 s[0:3], s[4:5], 0x18
	s_waitcnt lgkmcnt(0)
	s_and_b32 s3, s7, 0xffff
	s_mul_i32 s6, s6, s3
	v_add_u32_e32 v0, s6, v0
	v_cmp_gt_i32_e32 vcc, s0, v0
	s_and_saveexec_b64 s[6:7], vcc
	s_cbranch_execz .LBB0_117
; %bb.1:
	s_mul_i32 s0, s2, 18
	s_abs_i32 s3, s0
	v_cvt_f32_u32_e32 v1, s3
	s_sub_i32 s6, 0, s3
	v_sub_u32_e32 v4, 0, v0
	s_abs_i32 s14, s2
	v_rcp_iflag_f32_e32 v1, v1
	v_max_i32_e32 v4, v0, v4
	v_cvt_f32_u32_e32 v2, s14
	v_xor_b32_e32 v5, s0, v0
	v_mul_f32_e32 v1, 0x4f7ffffe, v1
	v_cvt_u32_f32_e32 v1, v1
	v_rcp_iflag_f32_e32 v2, v2
	v_ashrrev_i32_e32 v20, 31, v5
	s_mov_b32 s15, 0
	v_mul_lo_u32 v3, s6, v1
	v_mul_f32_e32 v2, 0x4f7ffffe, v2
	v_cvt_u32_f32_e32 v2, v2
	s_load_dwordx4 s[8:11], s[4:5], 0x0
	s_load_dwordx2 s[6:7], s[4:5], 0x10
	v_mul_hi_u32 v3, v1, v3
	s_sub_i32 s4, 0, s14
	v_mov_b32_e32 v10, 0
	s_waitcnt lgkmcnt(0)
	s_mov_b64 s[12:13], s[10:11]
	v_add_u32_e32 v1, v1, v3
	v_mul_hi_u32 v1, v4, v1
	v_mul_lo_u32 v3, s4, v2
	v_mul_i32_i24_e32 v14, 18, v20
	v_mul_lo_u32 v6, v1, s3
	v_add_u32_e32 v5, 1, v1
	v_mul_hi_u32 v3, v2, v3
	v_sub_u32_e32 v4, v4, v6
	v_cmp_le_u32_e32 vcc, s3, v4
	v_cndmask_b32_e32 v1, v1, v5, vcc
	v_subrev_u32_e32 v5, s3, v4
	v_cndmask_b32_e32 v4, v4, v5, vcc
	v_add_u32_e32 v5, 1, v1
	v_cmp_le_u32_e32 vcc, s3, v4
	v_cndmask_b32_e32 v1, v1, v5, vcc
	v_xor_b32_e32 v21, v1, v20
	v_sub_u32_e32 v1, v21, v20
	v_mul_lo_u32 v4, v1, s0
	s_abs_i32 s0, s1
	v_cvt_f32_u32_e32 v5, s0
	v_add_u32_e32 v2, v2, v3
	v_sub_u32_e32 v7, v0, v4
	v_sub_u32_e32 v3, 0, v7
	v_max_i32_e32 v3, v7, v3
	v_mul_hi_u32 v2, v3, v2
	v_rcp_iflag_f32_e32 v4, v5
	v_xor_b32_e32 v6, s2, v7
	v_ashrrev_i32_e32 v11, 31, v6
	v_mul_lo_u32 v5, v2, s14
	v_mul_f32_e32 v4, 0x4f7ffffe, v4
	v_cvt_u32_f32_e32 v4, v4
	v_add_u32_e32 v6, 1, v2
	v_sub_u32_e32 v3, v3, v5
	v_cmp_le_u32_e32 vcc, s14, v3
	s_sub_i32 s3, 0, s0
	v_cndmask_b32_e32 v2, v2, v6, vcc
	v_subrev_u32_e32 v5, s14, v3
	v_mul_lo_u32 v6, s3, v4
	v_cndmask_b32_e32 v3, v3, v5, vcc
	v_add_u32_e32 v5, 1, v2
	v_cmp_le_u32_e32 vcc, s14, v3
	v_cndmask_b32_e32 v2, v2, v5, vcc
	v_xor_b32_e32 v12, v2, v11
	v_mul_hi_u32 v2, v4, v6
	v_sub_u32_e32 v3, 0, v1
	v_max_i32_e32 v9, v1, v3
	v_mul_lo_u32 v8, s1, v1
	v_add_u32_e32 v2, v4, v2
	v_mad_u64_u32 v[2:3], s[4:5], v9, v2, 0
	v_mul_lo_u32 v13, v21, 18
	v_sub_u32_e32 v19, v12, v11
	s_cmp_gt_i32 s1, 0
	v_cmp_eq_u32_e32 vcc, 0, v19
	s_cselect_b64 s[4:5], -1, 0
	s_and_b64 s[18:19], vcc, s[4:5]
	s_and_saveexec_b64 s[16:17], s[18:19]
	s_cbranch_execz .LBB0_8
; %bb.2:
	v_add3_u32 v2, v11, v8, v14
	v_sub_u32_e32 v2, v2, v12
	v_sub_u32_e32 v2, v2, v13
	v_mad_u64_u32 v[4:5], s[18:19], s2, v2, v[0:1]
	v_mov_b32_e32 v10, 0
	s_mov_b32 s3, 0
	s_branch .LBB0_4
.LBB0_3:                                ;   in Loop: Header=BB0_4 Depth=1
	s_add_i32 s3, s3, 1
	s_cmp_lg_u32 s3, s1
	s_cbranch_scc0 .LBB0_8
.LBB0_4:                                ; =>This Loop Header: Depth=1
                                        ;     Child Loop BB0_6 Depth 2
                                        ;       Child Loop BB0_7 Depth 3
	s_mul_i32 s18, s3, s1
	s_mov_b32 s19, 0
	s_branch .LBB0_6
.LBB0_5:                                ;   in Loop: Header=BB0_6 Depth=2
	s_add_i32 s19, s19, 1
	s_cmp_lg_u32 s19, s1
	s_cbranch_scc0 .LBB0_3
.LBB0_6:                                ;   Parent Loop BB0_4 Depth=1
                                        ; =>  This Loop Header: Depth=2
                                        ;       Child Loop BB0_7 Depth 3
	s_add_i32 s14, s19, s18
	s_lshl_b64 s[20:21], s[14:15], 2
	s_add_u32 s20, s10, s20
	s_addc_u32 s21, s11, s21
	s_load_dword s14, s[20:21], 0x0
	v_mov_b32_e32 v5, v4
	s_waitcnt lgkmcnt(0)
	v_cmp_ngt_f32_e64 s[20:21], s14, 0
	s_and_b64 vcc, exec, s[20:21]
	s_mov_b32 s20, s1
	s_cbranch_vccnz .LBB0_5
.LBB0_7:                                ;   Parent Loop BB0_4 Depth=1
                                        ;     Parent Loop BB0_6 Depth=2
                                        ; =>    This Inner Loop Header: Depth=3
	v_ashrrev_i32_e32 v6, 31, v5
	v_lshlrev_b64 v[15:16], 2, v[5:6]
	v_mov_b32_e32 v2, s9
	v_add_co_u32_e32 v15, vcc, s8, v15
	v_addc_co_u32_e32 v16, vcc, v2, v16, vcc
	global_load_dword v2, v[15:16], off
	s_add_i32 s20, s20, -1
	s_cmp_lg_u32 s20, 0
	v_add_u32_e32 v5, s2, v5
	s_waitcnt vmcnt(0)
	v_fmac_f32_e32 v10, s14, v2
	s_cbranch_scc1 .LBB0_7
	s_branch .LBB0_5
.LBB0_8:
	s_or_b64 exec, exec, s[16:17]
	v_mul_lo_u32 v4, v3, s0
	v_add_u32_e32 v6, 1, v3
	v_ashrrev_i32_e32 v2, 31, v1
	s_ashr_i32 s3, s1, 31
	v_sub_u32_e32 v4, v9, v4
	v_cmp_le_u32_e32 vcc, s0, v4
	v_cndmask_b32_e32 v3, v3, v6, vcc
	v_subrev_u32_e32 v6, s0, v4
	v_cndmask_b32_e32 v4, v4, v6, vcc
	v_add_u32_e32 v6, 1, v3
	v_cmp_le_u32_e32 vcc, s0, v4
	v_xor_b32_e32 v5, s3, v2
	v_cndmask_b32_e32 v3, v3, v6, vcc
	v_xor_b32_e32 v3, v3, v5
	v_sub_u32_e32 v17, v3, v5
	v_mul_lo_u32 v16, v17, s1
	s_mul_i32 s3, s1, s1
	v_mul_lo_u32 v9, s3, v17
	v_add_u32_e32 v15, 1, v19
	v_sub_u32_e32 v18, v1, v16
	v_mul_lo_u32 v3, v18, s1
	v_cmp_eq_u32_e32 vcc, 2, v15
	s_mul_i32 s0, s2, s1
	s_and_b64 s[16:17], vcc, s[4:5]
	s_and_saveexec_b64 s[14:15], s[16:17]
	s_cbranch_execz .LBB0_16
; %bb.9:
	v_add3_u32 v4, v11, v9, v14
	v_sub_u32_e32 v4, v4, v12
	v_sub_u32_e32 v4, v4, v13
	v_mad_u64_u32 v[4:5], s[16:17], s2, v4, v[0:1]
	s_mov_b32 s3, 0
	v_mov_b32_e32 v22, s11
	s_branch .LBB0_11
.LBB0_10:                               ;   in Loop: Header=BB0_11 Depth=1
	s_or_b64 exec, exec, s[16:17]
	s_add_i32 s3, s3, 1
	s_cmp_lg_u32 s3, s1
	s_cbranch_scc0 .LBB0_16
.LBB0_11:                               ; =>This Loop Header: Depth=1
                                        ;     Child Loop BB0_13 Depth 2
                                        ;       Child Loop BB0_14 Depth 3
	v_add_u32_e32 v5, s3, v3
	v_ashrrev_i32_e32 v6, 31, v5
	v_lshlrev_b64 v[5:6], 2, v[5:6]
	v_add_co_u32_e32 v5, vcc, s10, v5
	v_addc_co_u32_e32 v6, vcc, v22, v6, vcc
	global_load_dword v23, v[5:6], off
	s_waitcnt vmcnt(0)
	v_cmp_lt_f32_e32 vcc, 0, v23
	s_and_saveexec_b64 s[16:17], vcc
	s_cbranch_execz .LBB0_10
; %bb.12:                               ;   in Loop: Header=BB0_11 Depth=1
	s_mov_b32 s18, 0
	v_mov_b32_e32 v24, v4
.LBB0_13:                               ;   Parent Loop BB0_11 Depth=1
                                        ; =>  This Loop Header: Depth=2
                                        ;       Child Loop BB0_14 Depth 3
	v_mov_b32_e32 v5, v24
	s_mov_b32 s19, s1
.LBB0_14:                               ;   Parent Loop BB0_11 Depth=1
                                        ;     Parent Loop BB0_13 Depth=2
                                        ; =>    This Inner Loop Header: Depth=3
	v_ashrrev_i32_e32 v6, 31, v5
	v_lshlrev_b64 v[25:26], 2, v[5:6]
	v_mov_b32_e32 v6, s9
	v_add_co_u32_e32 v25, vcc, s8, v25
	v_addc_co_u32_e32 v26, vcc, v6, v26, vcc
	global_load_dword v6, v[25:26], off
	s_add_i32 s19, s19, -1
	s_cmp_lg_u32 s19, 0
	v_add_u32_e32 v5, s2, v5
	s_waitcnt vmcnt(0)
	v_fmac_f32_e32 v10, v23, v6
	s_cbranch_scc1 .LBB0_14
; %bb.15:                               ;   in Loop: Header=BB0_13 Depth=2
	s_add_i32 s18, s18, 1
	s_cmp_lg_u32 s18, s1
	v_add_u32_e32 v24, s0, v24
	s_cbranch_scc1 .LBB0_13
	s_branch .LBB0_10
.LBB0_16:
	s_or_b64 exec, exec, s[14:15]
	v_cmp_eq_u32_e32 vcc, 3, v15
	s_mul_i32 s3, s0, s1
	s_and_b64 s[16:17], vcc, s[4:5]
	s_and_saveexec_b64 s[14:15], s[16:17]
	s_cbranch_execz .LBB0_23
; %bb.17:
	v_mad_i32_i24 v4, v20, 17, v11
	v_sub_u32_e32 v4, v4, v12
	v_lshl_add_u32 v5, v21, 4, v21
	v_sub_u32_e32 v4, v4, v5
	v_mad_u64_u32 v[4:5], s[16:17], s2, v4, v[0:1]
	s_mov_b32 s17, 0
	s_mov_b32 s18, 0
	s_branch .LBB0_19
.LBB0_18:                               ;   in Loop: Header=BB0_19 Depth=1
	s_add_i32 s18, s18, 1
	s_cmp_lg_u32 s18, s1
	s_cbranch_scc0 .LBB0_23
.LBB0_19:                               ; =>This Loop Header: Depth=1
                                        ;     Child Loop BB0_21 Depth 2
                                        ;       Child Loop BB0_22 Depth 3
	s_mul_i32 s19, s18, s1
	s_mov_b32 s20, s17
	s_branch .LBB0_21
.LBB0_20:                               ;   in Loop: Header=BB0_21 Depth=2
	s_add_i32 s20, s20, 1
	s_cmp_lg_u32 s20, s1
	s_cbranch_scc0 .LBB0_18
.LBB0_21:                               ;   Parent Loop BB0_19 Depth=1
                                        ; =>  This Loop Header: Depth=2
                                        ;       Child Loop BB0_22 Depth 3
	s_add_i32 s16, s20, s19
	s_lshl_b64 s[22:23], s[16:17], 2
	s_add_u32 s22, s10, s22
	s_addc_u32 s23, s11, s23
	s_load_dword s16, s[22:23], 0x0
	v_mov_b32_e32 v5, v4
	s_mov_b32 s21, s1
	s_waitcnt lgkmcnt(0)
	v_cmp_ngt_f32_e64 s[22:23], s16, 0
	s_and_b64 vcc, exec, s[22:23]
	s_cbranch_vccnz .LBB0_20
.LBB0_22:                               ;   Parent Loop BB0_19 Depth=1
                                        ;     Parent Loop BB0_21 Depth=2
                                        ; =>    This Inner Loop Header: Depth=3
	v_ashrrev_i32_e32 v6, 31, v5
	v_lshlrev_b64 v[20:21], 2, v[5:6]
	v_mov_b32_e32 v6, s9
	v_add_co_u32_e32 v20, vcc, s8, v20
	v_addc_co_u32_e32 v21, vcc, v6, v21, vcc
	global_load_dword v6, v[20:21], off
	s_add_i32 s21, s21, -1
	s_cmp_lg_u32 s21, 0
	v_add_u32_e32 v5, s3, v5
	s_waitcnt vmcnt(0)
	v_fmac_f32_e32 v10, s16, v6
	s_cbranch_scc1 .LBB0_22
	s_branch .LBB0_20
.LBB0_23:
	s_or_b64 exec, exec, s[14:15]
	v_cmp_eq_u32_e32 vcc, 4, v15
	s_and_b64 s[16:17], vcc, s[4:5]
	s_and_saveexec_b64 s[14:15], s[16:17]
	s_cbranch_execz .LBB0_31
; %bb.24:
	v_add3_u32 v4, v11, v16, v14
	v_sub_u32_e32 v4, v4, v12
	v_sub_u32_e32 v4, v4, v13
	v_mad_u64_u32 v[4:5], s[16:17], s2, v4, v[0:1]
	s_mov_b32 s18, 0
	v_mov_b32_e32 v20, s11
	s_branch .LBB0_26
.LBB0_25:                               ;   in Loop: Header=BB0_26 Depth=1
	s_or_b64 exec, exec, s[16:17]
	s_add_i32 s18, s18, 1
	s_cmp_lg_u32 s18, s1
	s_cbranch_scc0 .LBB0_31
.LBB0_26:                               ; =>This Loop Header: Depth=1
                                        ;     Child Loop BB0_28 Depth 2
                                        ;       Child Loop BB0_29 Depth 3
	v_add_u32_e32 v5, s18, v3
	v_ashrrev_i32_e32 v6, 31, v5
	v_lshlrev_b64 v[5:6], 2, v[5:6]
	v_add_co_u32_e32 v5, vcc, s10, v5
	v_addc_co_u32_e32 v6, vcc, v20, v6, vcc
	global_load_dword v21, v[5:6], off
	s_waitcnt vmcnt(0)
	v_cmp_lt_f32_e32 vcc, 0, v21
	s_and_saveexec_b64 s[16:17], vcc
	s_cbranch_execz .LBB0_25
; %bb.27:                               ;   in Loop: Header=BB0_26 Depth=1
	s_mov_b32 s19, 0
	v_mov_b32_e32 v22, v4
.LBB0_28:                               ;   Parent Loop BB0_26 Depth=1
                                        ; =>  This Loop Header: Depth=2
                                        ;       Child Loop BB0_29 Depth 3
	v_mov_b32_e32 v5, v22
	s_mov_b32 s20, s1
.LBB0_29:                               ;   Parent Loop BB0_26 Depth=1
                                        ;     Parent Loop BB0_28 Depth=2
                                        ; =>    This Inner Loop Header: Depth=3
	v_ashrrev_i32_e32 v6, 31, v5
	v_lshlrev_b64 v[23:24], 2, v[5:6]
	v_mov_b32_e32 v6, s9
	v_add_co_u32_e32 v23, vcc, s8, v23
	v_addc_co_u32_e32 v24, vcc, v6, v24, vcc
	global_load_dword v6, v[23:24], off
	s_add_i32 s20, s20, -1
	s_cmp_lg_u32 s20, 0
	v_add_u32_e32 v5, s2, v5
	s_waitcnt vmcnt(0)
	v_fmac_f32_e32 v10, v21, v6
	s_cbranch_scc1 .LBB0_29
; %bb.30:                               ;   in Loop: Header=BB0_28 Depth=2
	s_add_i32 s19, s19, 1
	s_cmp_lg_u32 s19, s1
	v_add_u32_e32 v22, s3, v22
	s_cbranch_scc1 .LBB0_28
	s_branch .LBB0_25
.LBB0_31:
	s_or_b64 exec, exec, s[14:15]
	v_mul_lo_u32 v4, v19, s2
	v_cmp_eq_u32_e32 vcc, 5, v15
	v_sub_u32_e32 v5, v7, v4
	s_and_saveexec_b64 s[14:15], vcc
	s_cbranch_execz .LBB0_40
; %bb.32:
	v_lshlrev_b64 v[6:7], 2, v[1:2]
	v_mov_b32_e32 v4, s11
	v_add_co_u32_e32 v6, vcc, s10, v6
	v_addc_co_u32_e32 v7, vcc, v4, v7, vcc
	global_load_dword v4, v[6:7], off
	s_mov_b32 s18, 0
	s_waitcnt vmcnt(0)
	v_cmp_lt_f32_e32 vcc, 0, v4
	s_and_b64 s[20:21], vcc, s[4:5]
	s_and_saveexec_b64 s[16:17], s[20:21]
	s_cbranch_execz .LBB0_39
; %bb.33:
	v_mov_b32_e32 v19, s9
	v_mov_b32_e32 v20, v5
.LBB0_34:                               ; =>This Loop Header: Depth=1
                                        ;     Child Loop BB0_35 Depth 2
                                        ;       Child Loop BB0_36 Depth 3
	s_mov_b32 s19, 0
	v_mov_b32_e32 v21, v20
.LBB0_35:                               ;   Parent Loop BB0_34 Depth=1
                                        ; =>  This Loop Header: Depth=2
                                        ;       Child Loop BB0_36 Depth 3
	v_mov_b32_e32 v6, v21
	s_mov_b32 s20, s1
.LBB0_36:                               ;   Parent Loop BB0_34 Depth=1
                                        ;     Parent Loop BB0_35 Depth=2
                                        ; =>    This Inner Loop Header: Depth=3
	v_ashrrev_i32_e32 v7, 31, v6
	v_lshlrev_b64 v[22:23], 2, v[6:7]
	s_add_i32 s20, s20, -1
	v_add_co_u32_e32 v22, vcc, s8, v22
	v_addc_co_u32_e32 v23, vcc, v19, v23, vcc
	global_load_dword v7, v[22:23], off
	s_cmp_lg_u32 s20, 0
	v_add_u32_e32 v6, s2, v6
	s_waitcnt vmcnt(0)
	v_fmac_f32_e32 v10, v4, v7
	s_cbranch_scc1 .LBB0_36
; %bb.37:                               ;   in Loop: Header=BB0_35 Depth=2
	s_add_i32 s19, s19, 1
	s_cmp_lg_u32 s19, s1
	v_add_u32_e32 v21, s0, v21
	s_cbranch_scc1 .LBB0_35
; %bb.38:                               ;   in Loop: Header=BB0_34 Depth=1
	s_add_i32 s18, s18, 1
	s_cmp_lg_u32 s18, s1
	v_add_u32_e32 v20, s3, v20
	s_cbranch_scc1 .LBB0_34
.LBB0_39:
	s_or_b64 exec, exec, s[16:17]
.LBB0_40:
	s_or_b64 exec, exec, s[14:15]
	v_cmp_eq_u32_e32 vcc, 6, v15
	s_and_b64 s[16:17], vcc, s[4:5]
	s_and_saveexec_b64 s[14:15], s[16:17]
	s_cbranch_execz .LBB0_45
; %bb.41:
	v_mul_lo_u32 v4, v17, s3
	v_mul_lo_u32 v6, v18, s0
	s_mov_b32 s17, 0
	s_mov_b32 s16, s1
	s_lshl_b64 s[18:19], s[16:17], 2
	v_add3_u32 v4, v6, v5, v4
	v_mov_b32_e32 v6, s9
	s_mov_b64 s[20:21], s[12:13]
.LBB0_42:                               ; =>This Loop Header: Depth=1
                                        ;     Child Loop BB0_43 Depth 2
	s_mul_i32 s16, s17, s2
	v_add_u32_e32 v19, s16, v4
	v_ashrrev_i32_e32 v20, 31, v19
	v_lshlrev_b64 v[19:20], 2, v[19:20]
	s_mov_b64 s[22:23], s[20:21]
	v_add_co_u32_e32 v19, vcc, s8, v19
	v_addc_co_u32_e32 v20, vcc, v6, v20, vcc
	global_load_dword v7, v[19:20], off
	s_mov_b32 s16, s1
.LBB0_43:                               ;   Parent Loop BB0_42 Depth=1
                                        ; =>  This Inner Loop Header: Depth=2
	s_load_dword s24, s[22:23], 0x0
	s_add_i32 s16, s16, -1
	s_add_u32 s22, s22, 4
	s_addc_u32 s23, s23, 0
	s_cmp_lg_u32 s16, 0
	s_waitcnt vmcnt(0) lgkmcnt(0)
	v_fmac_f32_e32 v10, s24, v7
	s_cbranch_scc1 .LBB0_43
; %bb.44:                               ;   in Loop: Header=BB0_42 Depth=1
	s_add_i32 s17, s17, 1
	s_add_u32 s20, s20, s18
	s_addc_u32 s21, s21, s19
	s_cmp_lg_u32 s17, s1
	s_cbranch_scc1 .LBB0_42
.LBB0_45:
	s_or_b64 exec, exec, s[14:15]
	v_cmp_eq_u32_e32 vcc, 7, v15
	s_and_b64 s[16:17], vcc, s[4:5]
	s_and_saveexec_b64 s[14:15], s[16:17]
	s_cbranch_execz .LBB0_50
; %bb.46:
	v_add3_u32 v4, v11, v8, v14
	v_sub_u32_e32 v4, v4, v12
	v_sub_u32_e32 v4, v4, v13
	v_mad_u64_u32 v[6:7], s[16:17], s2, v4, v[0:1]
	s_add_i32 s16, s1, 1
	s_mov_b32 s17, 0
	s_branch .LBB0_48
.LBB0_47:                               ;   in Loop: Header=BB0_48 Depth=1
	s_add_i32 s17, s17, 1
	s_cmp_lg_u32 s17, s1
	s_cbranch_scc0 .LBB0_50
.LBB0_48:                               ; =>This Loop Header: Depth=1
                                        ;     Child Loop BB0_49 Depth 2
	s_mul_i32 s18, s17, s16
	s_ashr_i32 s19, s18, 31
	s_lshl_b64 s[18:19], s[18:19], 2
	s_add_u32 s18, s10, s18
	s_addc_u32 s19, s11, s19
	s_load_dword s18, s[18:19], 0x0
	v_mov_b32_e32 v7, v6
	s_mov_b32 s19, s1
	s_waitcnt lgkmcnt(0)
	v_cmp_ngt_f32_e64 s[20:21], s18, 0
	s_and_b64 vcc, exec, s[20:21]
	s_cbranch_vccnz .LBB0_47
.LBB0_49:                               ;   Parent Loop BB0_48 Depth=1
                                        ; =>  This Inner Loop Header: Depth=2
	v_ashrrev_i32_e32 v8, 31, v7
	v_lshlrev_b64 v[19:20], 2, v[7:8]
	v_mov_b32_e32 v4, s9
	v_add_co_u32_e32 v19, vcc, s8, v19
	v_addc_co_u32_e32 v20, vcc, v4, v20, vcc
	global_load_dword v4, v[19:20], off
	s_add_i32 s19, s19, -1
	s_cmp_lg_u32 s19, 0
	v_add_u32_e32 v7, s2, v7
	s_waitcnt vmcnt(0)
	v_fmac_f32_e32 v10, s18, v4
	s_cbranch_scc1 .LBB0_49
	s_branch .LBB0_47
.LBB0_50:
	s_or_b64 exec, exec, s[14:15]
	v_cmp_eq_u32_e32 vcc, 8, v15
	s_and_b64 s[16:17], vcc, s[4:5]
	s_and_saveexec_b64 s[14:15], s[16:17]
	s_cbranch_execz .LBB0_56
; %bb.51:
	v_add3_u32 v4, v11, v9, v14
	v_sub_u32_e32 v4, v4, v12
	v_sub_u32_e32 v4, v4, v13
	v_mad_u64_u32 v[6:7], s[16:17], s2, v4, v[0:1]
	s_add_i32 s18, s0, s2
	s_mov_b32 s19, 0
	v_mov_b32_e32 v4, s11
	s_branch .LBB0_53
.LBB0_52:                               ;   in Loop: Header=BB0_53 Depth=1
	s_or_b64 exec, exec, s[16:17]
	s_add_i32 s19, s19, 1
	s_cmp_lg_u32 s19, s1
	s_cbranch_scc0 .LBB0_56
.LBB0_53:                               ; =>This Loop Header: Depth=1
                                        ;     Child Loop BB0_55 Depth 2
	v_add_u32_e32 v7, s19, v3
	v_ashrrev_i32_e32 v8, 31, v7
	v_lshlrev_b64 v[7:8], 2, v[7:8]
	v_add_co_u32_e32 v7, vcc, s10, v7
	v_addc_co_u32_e32 v8, vcc, v4, v8, vcc
	global_load_dword v19, v[7:8], off
	s_waitcnt vmcnt(0)
	v_cmp_lt_f32_e32 vcc, 0, v19
	s_and_saveexec_b64 s[16:17], vcc
	s_cbranch_execz .LBB0_52
; %bb.54:                               ;   in Loop: Header=BB0_53 Depth=1
	v_mov_b32_e32 v7, v6
	s_mov_b32 s20, s1
.LBB0_55:                               ;   Parent Loop BB0_53 Depth=1
                                        ; =>  This Inner Loop Header: Depth=2
	v_ashrrev_i32_e32 v8, 31, v7
	v_lshlrev_b64 v[20:21], 2, v[7:8]
	v_mov_b32_e32 v8, s9
	v_add_co_u32_e32 v20, vcc, s8, v20
	v_addc_co_u32_e32 v21, vcc, v8, v21, vcc
	global_load_dword v8, v[20:21], off
	s_add_i32 s20, s20, -1
	s_cmp_lg_u32 s20, 0
	v_add_u32_e32 v7, s18, v7
	s_waitcnt vmcnt(0)
	v_fmac_f32_e32 v10, v19, v8
	s_cbranch_scc1 .LBB0_55
	s_branch .LBB0_52
.LBB0_56:
	s_or_b64 exec, exec, s[14:15]
	v_cmp_eq_u32_e32 vcc, 9, v15
	s_and_b64 s[16:17], vcc, s[4:5]
	s_and_saveexec_b64 s[14:15], s[16:17]
	s_cbranch_execz .LBB0_62
; %bb.57:
	v_add3_u32 v4, v11, v9, v14
	v_sub_u32_e32 v4, v4, v12
	v_sub_u32_e32 v4, v4, v13
	v_mad_u64_u32 v[6:7], s[16:17], s2, v4, v[0:1]
	s_mov_b32 s18, 0
	v_mov_b32_e32 v4, s11
	s_branch .LBB0_59
.LBB0_58:                               ;   in Loop: Header=BB0_59 Depth=1
	s_or_b64 exec, exec, s[16:17]
	s_add_i32 s18, s18, 1
	s_cmp_lg_u32 s18, s1
	v_add_u32_e32 v6, s0, v6
	s_cbranch_scc0 .LBB0_62
.LBB0_59:                               ; =>This Loop Header: Depth=1
                                        ;     Child Loop BB0_61 Depth 2
	v_add_u32_e32 v7, s18, v3
	v_ashrrev_i32_e32 v8, 31, v7
	v_lshlrev_b64 v[7:8], 2, v[7:8]
	v_add_co_u32_e32 v7, vcc, s10, v7
	v_addc_co_u32_e32 v8, vcc, v4, v8, vcc
	global_load_dword v19, v[7:8], off
	s_waitcnt vmcnt(0)
	v_cmp_lt_f32_e32 vcc, 0, v19
	s_and_saveexec_b64 s[16:17], vcc
	s_cbranch_execz .LBB0_58
; %bb.60:                               ;   in Loop: Header=BB0_59 Depth=1
	v_mov_b32_e32 v7, v6
	s_mov_b32 s19, s1
.LBB0_61:                               ;   Parent Loop BB0_59 Depth=1
                                        ; =>  This Inner Loop Header: Depth=2
	v_ashrrev_i32_e32 v8, 31, v7
	v_lshlrev_b64 v[20:21], 2, v[7:8]
	v_mov_b32_e32 v8, s9
	v_add_co_u32_e32 v20, vcc, s8, v20
	v_addc_co_u32_e32 v21, vcc, v8, v21, vcc
	global_load_dword v8, v[20:21], off
	s_add_i32 s19, s19, -1
	s_cmp_lg_u32 s19, 0
	v_add_u32_e32 v7, s2, v7
	s_waitcnt vmcnt(0)
	v_fmac_f32_e32 v10, v19, v8
	s_cbranch_scc1 .LBB0_61
	s_branch .LBB0_58
.LBB0_62:
	s_or_b64 exec, exec, s[14:15]
	v_cmp_eq_u32_e32 vcc, 10, v15
	s_and_b64 s[16:17], vcc, s[4:5]
	s_and_saveexec_b64 s[14:15], s[16:17]
	s_cbranch_execz .LBB0_69
; %bb.63:
	v_mul_lo_u32 v4, v17, s0
	v_mul_lo_u32 v6, v18, s2
	s_mov_b32 s17, 0
	s_mov_b32 s16, s1
	s_lshl_b64 s[18:19], s[16:17], 2
	v_add3_u32 v4, v6, v5, v4
	v_mov_b32_e32 v8, s9
	s_branch .LBB0_65
.LBB0_64:                               ;   in Loop: Header=BB0_65 Depth=1
	s_add_i32 s17, s17, 1
	s_add_u32 s12, s12, s18
	s_addc_u32 s13, s13, s19
	s_cmp_lg_u32 s17, s1
	s_cbranch_scc0 .LBB0_69
.LBB0_65:                               ; =>This Loop Header: Depth=1
                                        ;     Child Loop BB0_67 Depth 2
	s_mul_i32 s16, s17, s3
	v_add_u32_e32 v6, s16, v4
	v_ashrrev_i32_e32 v7, 31, v6
	v_lshlrev_b64 v[6:7], 2, v[6:7]
	s_mov_b64 s[20:21], s[12:13]
	v_add_co_u32_e32 v6, vcc, s8, v6
	v_addc_co_u32_e32 v7, vcc, v8, v7, vcc
	s_mov_b32 s16, s1
	s_branch .LBB0_67
.LBB0_66:                               ;   in Loop: Header=BB0_67 Depth=2
	s_add_i32 s16, s16, -1
	s_add_u32 s20, s20, 4
	s_addc_u32 s21, s21, 0
	s_cmp_lg_u32 s16, 0
	s_cbranch_scc0 .LBB0_64
.LBB0_67:                               ;   Parent Loop BB0_65 Depth=1
                                        ; =>  This Inner Loop Header: Depth=2
	s_load_dword s22, s[20:21], 0x0
	s_waitcnt lgkmcnt(0)
	v_cmp_ngt_f32_e64 s[24:25], s22, 0
	s_and_b64 vcc, exec, s[24:25]
	s_cbranch_vccnz .LBB0_66
; %bb.68:                               ;   in Loop: Header=BB0_67 Depth=2
	global_load_dword v17, v[6:7], off
	s_waitcnt vmcnt(0)
	v_fmac_f32_e32 v10, s22, v17
	s_branch .LBB0_66
.LBB0_69:
	s_or_b64 exec, exec, s[14:15]
	v_cmp_eq_u32_e32 vcc, 11, v15
	s_and_b64 s[14:15], vcc, s[4:5]
	s_and_saveexec_b64 s[12:13], s[14:15]
	s_cbranch_execz .LBB0_75
; %bb.70:
	v_add3_u32 v4, v11, v16, v14
	v_sub_u32_e32 v4, v4, v12
	v_sub_u32_e32 v4, v4, v13
	v_mad_u64_u32 v[6:7], s[14:15], s2, v4, v[0:1]
	s_add_i32 s16, s3, s2
	s_mov_b32 s17, 0
	v_mov_b32_e32 v4, s11
	s_branch .LBB0_72
.LBB0_71:                               ;   in Loop: Header=BB0_72 Depth=1
	s_or_b64 exec, exec, s[14:15]
	s_add_i32 s17, s17, 1
	s_cmp_lg_u32 s17, s1
	s_cbranch_scc0 .LBB0_75
.LBB0_72:                               ; =>This Loop Header: Depth=1
                                        ;     Child Loop BB0_74 Depth 2
	v_add_u32_e32 v7, s17, v3
	v_ashrrev_i32_e32 v8, 31, v7
	v_lshlrev_b64 v[7:8], 2, v[7:8]
	v_add_co_u32_e32 v7, vcc, s10, v7
	v_addc_co_u32_e32 v8, vcc, v4, v8, vcc
	global_load_dword v17, v[7:8], off
	s_waitcnt vmcnt(0)
	v_cmp_lt_f32_e32 vcc, 0, v17
	s_and_saveexec_b64 s[14:15], vcc
	s_cbranch_execz .LBB0_71
; %bb.73:                               ;   in Loop: Header=BB0_72 Depth=1
	v_mov_b32_e32 v7, v6
	s_mov_b32 s18, s1
.LBB0_74:                               ;   Parent Loop BB0_72 Depth=1
                                        ; =>  This Inner Loop Header: Depth=2
	v_ashrrev_i32_e32 v8, 31, v7
	v_lshlrev_b64 v[18:19], 2, v[7:8]
	v_mov_b32_e32 v8, s9
	v_add_co_u32_e32 v18, vcc, s8, v18
	v_addc_co_u32_e32 v19, vcc, v8, v19, vcc
	global_load_dword v8, v[18:19], off
	s_add_i32 s18, s18, -1
	s_cmp_lg_u32 s18, 0
	v_add_u32_e32 v7, s16, v7
	s_waitcnt vmcnt(0)
	v_fmac_f32_e32 v10, v17, v8
	s_cbranch_scc1 .LBB0_74
	s_branch .LBB0_71
.LBB0_75:
	s_or_b64 exec, exec, s[12:13]
	v_cmp_eq_u32_e32 vcc, 12, v15
	s_and_b64 s[14:15], vcc, s[4:5]
	s_and_saveexec_b64 s[12:13], s[14:15]
	s_cbranch_execz .LBB0_81
; %bb.76:
	v_add3_u32 v4, v11, v16, v14
	v_sub_u32_e32 v4, v4, v12
	v_sub_u32_e32 v4, v4, v13
	v_mad_u64_u32 v[6:7], s[14:15], s2, v4, v[0:1]
	s_mov_b32 s16, 0
	v_mov_b32_e32 v4, s11
	s_branch .LBB0_78
.LBB0_77:                               ;   in Loop: Header=BB0_78 Depth=1
	s_or_b64 exec, exec, s[14:15]
	s_add_i32 s16, s16, 1
	s_cmp_lg_u32 s16, s1
	v_add_u32_e32 v6, s3, v6
	s_cbranch_scc0 .LBB0_81
.LBB0_78:                               ; =>This Loop Header: Depth=1
                                        ;     Child Loop BB0_80 Depth 2
	v_add_u32_e32 v7, s16, v3
	v_ashrrev_i32_e32 v8, 31, v7
	v_lshlrev_b64 v[7:8], 2, v[7:8]
	v_add_co_u32_e32 v7, vcc, s10, v7
	v_addc_co_u32_e32 v8, vcc, v4, v8, vcc
	global_load_dword v17, v[7:8], off
	s_waitcnt vmcnt(0)
	v_cmp_lt_f32_e32 vcc, 0, v17
	s_and_saveexec_b64 s[14:15], vcc
	s_cbranch_execz .LBB0_77
; %bb.79:                               ;   in Loop: Header=BB0_78 Depth=1
	v_mov_b32_e32 v7, v6
	s_mov_b32 s17, s1
.LBB0_80:                               ;   Parent Loop BB0_78 Depth=1
                                        ; =>  This Inner Loop Header: Depth=2
	v_ashrrev_i32_e32 v8, 31, v7
	v_lshlrev_b64 v[18:19], 2, v[7:8]
	v_mov_b32_e32 v8, s9
	v_add_co_u32_e32 v18, vcc, s8, v18
	v_addc_co_u32_e32 v19, vcc, v8, v19, vcc
	global_load_dword v8, v[18:19], off
	s_add_i32 s17, s17, -1
	s_cmp_lg_u32 s17, 0
	v_add_u32_e32 v7, s2, v7
	s_waitcnt vmcnt(0)
	v_fmac_f32_e32 v10, v17, v8
	s_cbranch_scc1 .LBB0_80
	s_branch .LBB0_77
.LBB0_81:
	s_or_b64 exec, exec, s[12:13]
	v_cmp_eq_u32_e32 vcc, 13, v15
	s_and_b64 s[14:15], vcc, s[4:5]
	s_and_saveexec_b64 s[12:13], s[14:15]
	s_cbranch_execz .LBB0_87
; %bb.82:
	v_add3_u32 v4, v11, v16, v14
	v_sub_u32_e32 v4, v4, v12
	v_sub_u32_e32 v4, v4, v13
	v_mad_u64_u32 v[6:7], s[14:15], s2, v4, v[0:1]
	s_mov_b32 s16, 0
	v_mov_b32_e32 v4, s11
	s_branch .LBB0_84
.LBB0_83:                               ;   in Loop: Header=BB0_84 Depth=1
	s_or_b64 exec, exec, s[14:15]
	s_add_i32 s16, s16, 1
	s_cmp_lg_u32 s16, s1
	v_add_u32_e32 v6, s2, v6
	s_cbranch_scc0 .LBB0_87
.LBB0_84:                               ; =>This Loop Header: Depth=1
                                        ;     Child Loop BB0_86 Depth 2
	v_add_u32_e32 v7, s16, v3
	v_ashrrev_i32_e32 v8, 31, v7
	v_lshlrev_b64 v[7:8], 2, v[7:8]
	v_add_co_u32_e32 v7, vcc, s10, v7
	v_addc_co_u32_e32 v8, vcc, v4, v8, vcc
	global_load_dword v17, v[7:8], off
	s_waitcnt vmcnt(0)
	v_cmp_lt_f32_e32 vcc, 0, v17
	s_and_saveexec_b64 s[14:15], vcc
	s_cbranch_execz .LBB0_83
; %bb.85:                               ;   in Loop: Header=BB0_84 Depth=1
	v_mov_b32_e32 v7, v6
	s_mov_b32 s17, s1
.LBB0_86:                               ;   Parent Loop BB0_84 Depth=1
                                        ; =>  This Inner Loop Header: Depth=2
	v_ashrrev_i32_e32 v8, 31, v7
	v_lshlrev_b64 v[18:19], 2, v[7:8]
	v_mov_b32_e32 v8, s9
	v_add_co_u32_e32 v18, vcc, s8, v18
	v_addc_co_u32_e32 v19, vcc, v8, v19, vcc
	global_load_dword v8, v[18:19], off
	s_add_i32 s17, s17, -1
	s_cmp_lg_u32 s17, 0
	v_add_u32_e32 v7, s3, v7
	s_waitcnt vmcnt(0)
	v_fmac_f32_e32 v10, v17, v8
	s_cbranch_scc1 .LBB0_86
	s_branch .LBB0_83
.LBB0_87:
	s_or_b64 exec, exec, s[12:13]
	v_cmp_eq_u32_e32 vcc, 14, v15
	s_and_saveexec_b64 s[12:13], vcc
	s_cbranch_execz .LBB0_94
; %bb.88:
	v_lshlrev_b64 v[6:7], 2, v[1:2]
	v_mov_b32_e32 v4, s11
	v_add_co_u32_e32 v6, vcc, s10, v6
	v_addc_co_u32_e32 v7, vcc, v4, v7, vcc
	global_load_dword v4, v[6:7], off
	s_mov_b32 s16, 0
	s_waitcnt vmcnt(0)
	v_cmp_lt_f32_e32 vcc, 0, v4
	s_and_b64 s[18:19], vcc, s[4:5]
	s_and_saveexec_b64 s[14:15], s[18:19]
	s_cbranch_execz .LBB0_93
; %bb.89:
	s_add_i32 s17, s3, s0
	v_mov_b32_e32 v8, s9
	v_mov_b32_e32 v17, v5
.LBB0_90:                               ; =>This Loop Header: Depth=1
                                        ;     Child Loop BB0_91 Depth 2
	v_mov_b32_e32 v6, v17
	s_mov_b32 s18, s1
.LBB0_91:                               ;   Parent Loop BB0_90 Depth=1
                                        ; =>  This Inner Loop Header: Depth=2
	v_ashrrev_i32_e32 v7, 31, v6
	v_lshlrev_b64 v[18:19], 2, v[6:7]
	s_add_i32 s18, s18, -1
	v_add_co_u32_e32 v18, vcc, s8, v18
	v_addc_co_u32_e32 v19, vcc, v8, v19, vcc
	global_load_dword v7, v[18:19], off
	s_cmp_eq_u32 s18, 0
	v_add_u32_e32 v6, s2, v6
	s_waitcnt vmcnt(0)
	v_fmac_f32_e32 v10, v4, v7
	s_cbranch_scc0 .LBB0_91
; %bb.92:                               ;   in Loop: Header=BB0_90 Depth=1
	s_add_i32 s16, s16, 1
	s_cmp_eq_u32 s16, s1
	v_add_u32_e32 v17, s17, v17
	s_cbranch_scc0 .LBB0_90
.LBB0_93:
	s_or_b64 exec, exec, s[14:15]
.LBB0_94:
	s_or_b64 exec, exec, s[12:13]
	v_cmp_eq_u32_e32 vcc, 15, v15
	s_and_saveexec_b64 s[12:13], vcc
	s_cbranch_execz .LBB0_101
; %bb.95:
	v_lshlrev_b64 v[6:7], 2, v[1:2]
	v_mov_b32_e32 v4, s11
	v_add_co_u32_e32 v6, vcc, s10, v6
	v_addc_co_u32_e32 v7, vcc, v4, v7, vcc
	global_load_dword v4, v[6:7], off
	s_mov_b32 s16, 0
	s_waitcnt vmcnt(0)
	v_cmp_lt_f32_e32 vcc, 0, v4
	s_and_b64 s[18:19], vcc, s[4:5]
	s_and_saveexec_b64 s[14:15], s[18:19]
	s_cbranch_execz .LBB0_100
; %bb.96:
	s_add_i32 s17, s0, s2
	v_mov_b32_e32 v8, s9
	v_mov_b32_e32 v17, v5
.LBB0_97:                               ; =>This Loop Header: Depth=1
                                        ;     Child Loop BB0_98 Depth 2
	v_mov_b32_e32 v6, v17
	s_mov_b32 s18, s1
.LBB0_98:                               ;   Parent Loop BB0_97 Depth=1
                                        ; =>  This Inner Loop Header: Depth=2
	v_ashrrev_i32_e32 v7, 31, v6
	v_lshlrev_b64 v[18:19], 2, v[6:7]
	s_add_i32 s18, s18, -1
	v_add_co_u32_e32 v18, vcc, s8, v18
	v_addc_co_u32_e32 v19, vcc, v8, v19, vcc
	global_load_dword v7, v[18:19], off
	s_cmp_eq_u32 s18, 0
	v_add_u32_e32 v6, s3, v6
	s_waitcnt vmcnt(0)
	v_fmac_f32_e32 v10, v4, v7
	s_cbranch_scc0 .LBB0_98
; %bb.99:                               ;   in Loop: Header=BB0_97 Depth=1
	s_add_i32 s16, s16, 1
	s_cmp_eq_u32 s16, s1
	v_add_u32_e32 v17, s17, v17
	s_cbranch_scc0 .LBB0_97
.LBB0_100:
	s_or_b64 exec, exec, s[14:15]
.LBB0_101:
	s_or_b64 exec, exec, s[12:13]
	v_cmp_eq_u32_e32 vcc, 16, v15
	s_and_b64 s[14:15], vcc, s[4:5]
	v_ashrrev_i32_e32 v4, 31, v3
	s_and_saveexec_b64 s[12:13], s[14:15]
	s_cbranch_execz .LBB0_106
; %bb.102:
	v_add3_u32 v6, v11, v9, v14
	v_sub_u32_e32 v6, v6, v12
	v_sub_u32_e32 v6, v6, v13
	v_lshlrev_b64 v[17:18], 2, v[3:4]
	v_mad_u64_u32 v[6:7], s[14:15], s2, v6, v[0:1]
	v_mov_b32_e32 v19, s11
	v_add_co_u32_e32 v8, vcc, s10, v17
	s_add_i32 s16, s0, s2
	v_addc_co_u32_e32 v9, vcc, v19, v18, vcc
	s_mov_b32 s17, s1
	s_branch .LBB0_104
.LBB0_103:                              ;   in Loop: Header=BB0_104 Depth=1
	s_or_b64 exec, exec, s[14:15]
	s_add_i32 s17, s17, -1
	v_add_co_u32_e32 v8, vcc, 4, v8
	v_addc_co_u32_e32 v9, vcc, 0, v9, vcc
	s_cmp_lg_u32 s17, 0
	v_add_u32_e32 v6, s16, v6
	s_cbranch_scc0 .LBB0_106
.LBB0_104:                              ; =>This Inner Loop Header: Depth=1
	global_load_dword v17, v[8:9], off
	s_waitcnt vmcnt(0)
	v_cmp_lt_f32_e32 vcc, 0, v17
	s_and_saveexec_b64 s[14:15], vcc
	s_cbranch_execz .LBB0_103
; %bb.105:                              ;   in Loop: Header=BB0_104 Depth=1
	v_ashrrev_i32_e32 v7, 31, v6
	v_lshlrev_b64 v[18:19], 2, v[6:7]
	v_mov_b32_e32 v7, s9
	v_add_co_u32_e32 v18, vcc, s8, v18
	v_addc_co_u32_e32 v19, vcc, v7, v19, vcc
	global_load_dword v7, v[18:19], off
	s_waitcnt vmcnt(0)
	v_fmac_f32_e32 v10, v17, v7
	s_branch .LBB0_103
.LBB0_106:
	s_or_b64 exec, exec, s[12:13]
	v_cmp_eq_u32_e32 vcc, 17, v15
	s_and_b64 s[14:15], vcc, s[4:5]
	s_and_saveexec_b64 s[12:13], s[14:15]
	s_cbranch_execz .LBB0_111
; %bb.107:
	v_lshlrev_b64 v[6:7], 2, v[3:4]
	v_add3_u32 v3, v11, v16, v14
	v_sub_u32_e32 v3, v3, v12
	v_sub_u32_e32 v3, v3, v13
	v_mad_u64_u32 v[3:4], s[14:15], s2, v3, v[0:1]
	v_mov_b32_e32 v8, s11
	v_add_co_u32_e32 v6, vcc, s10, v6
	s_add_i32 s16, s3, s2
	v_addc_co_u32_e32 v7, vcc, v8, v7, vcc
	s_mov_b32 s17, s1
	s_branch .LBB0_109
.LBB0_108:                              ;   in Loop: Header=BB0_109 Depth=1
	s_or_b64 exec, exec, s[14:15]
	s_add_i32 s17, s17, -1
	v_add_co_u32_e32 v6, vcc, 4, v6
	v_addc_co_u32_e32 v7, vcc, 0, v7, vcc
	s_cmp_lg_u32 s17, 0
	v_add_u32_e32 v3, s16, v3
	s_cbranch_scc0 .LBB0_111
.LBB0_109:                              ; =>This Inner Loop Header: Depth=1
	global_load_dword v8, v[6:7], off
	s_waitcnt vmcnt(0)
	v_cmp_lt_f32_e32 vcc, 0, v8
	s_and_saveexec_b64 s[14:15], vcc
	s_cbranch_execz .LBB0_108
; %bb.110:                              ;   in Loop: Header=BB0_109 Depth=1
	v_ashrrev_i32_e32 v4, 31, v3
	v_lshlrev_b64 v[11:12], 2, v[3:4]
	v_mov_b32_e32 v4, s9
	v_add_co_u32_e32 v11, vcc, s8, v11
	v_addc_co_u32_e32 v12, vcc, v4, v12, vcc
	global_load_dword v4, v[11:12], off
	s_waitcnt vmcnt(0)
	v_fmac_f32_e32 v10, v8, v4
	s_branch .LBB0_108
.LBB0_111:
	s_or_b64 exec, exec, s[12:13]
	v_cmp_eq_u32_e32 vcc, 18, v15
	s_and_saveexec_b64 s[12:13], vcc
	s_cbranch_execz .LBB0_116
; %bb.112:
	v_lshlrev_b64 v[1:2], 2, v[1:2]
	v_mov_b32_e32 v3, s11
	v_add_co_u32_e32 v1, vcc, s10, v1
	v_addc_co_u32_e32 v2, vcc, v3, v2, vcc
	global_load_dword v1, v[1:2], off
	s_waitcnt vmcnt(0)
	v_cmp_lt_f32_e32 vcc, 0, v1
	s_and_b64 s[10:11], vcc, s[4:5]
	s_and_saveexec_b64 s[4:5], s[10:11]
	s_cbranch_execz .LBB0_115
; %bb.113:
	s_add_i32 s0, s3, s0
	s_add_i32 s0, s0, s2
	v_mov_b32_e32 v2, s9
.LBB0_114:                              ; =>This Inner Loop Header: Depth=1
	v_ashrrev_i32_e32 v6, 31, v5
	v_lshlrev_b64 v[3:4], 2, v[5:6]
	s_add_i32 s1, s1, -1
	v_add_co_u32_e32 v3, vcc, s8, v3
	v_addc_co_u32_e32 v4, vcc, v2, v4, vcc
	global_load_dword v3, v[3:4], off
	s_cmp_lg_u32 s1, 0
	v_add_u32_e32 v5, s0, v5
	s_waitcnt vmcnt(0)
	v_fmac_f32_e32 v10, v1, v3
	s_cbranch_scc1 .LBB0_114
.LBB0_115:
	s_or_b64 exec, exec, s[4:5]
.LBB0_116:
	s_or_b64 exec, exec, s[12:13]
	v_ashrrev_i32_e32 v1, 31, v0
	v_lshlrev_b64 v[0:1], 2, v[0:1]
	v_mov_b32_e32 v2, s7
	v_add_co_u32_e32 v0, vcc, s6, v0
	v_addc_co_u32_e32 v1, vcc, v2, v1, vcc
	global_store_dword v[0:1], v10, off
.LBB0_117:
	s_endpgm
	.section	.rodata,"a",@progbits
	.p2align	6, 0x0
	.amdhsa_kernel _Z11contractionIfEvPKT_S2_PS0_iii
		.amdhsa_group_segment_fixed_size 0
		.amdhsa_private_segment_fixed_size 0
		.amdhsa_kernarg_size 296
		.amdhsa_user_sgpr_count 6
		.amdhsa_user_sgpr_private_segment_buffer 1
		.amdhsa_user_sgpr_dispatch_ptr 0
		.amdhsa_user_sgpr_queue_ptr 0
		.amdhsa_user_sgpr_kernarg_segment_ptr 1
		.amdhsa_user_sgpr_dispatch_id 0
		.amdhsa_user_sgpr_flat_scratch_init 0
		.amdhsa_user_sgpr_private_segment_size 0
		.amdhsa_uses_dynamic_stack 0
		.amdhsa_system_sgpr_private_segment_wavefront_offset 0
		.amdhsa_system_sgpr_workgroup_id_x 1
		.amdhsa_system_sgpr_workgroup_id_y 0
		.amdhsa_system_sgpr_workgroup_id_z 0
		.amdhsa_system_sgpr_workgroup_info 0
		.amdhsa_system_vgpr_workitem_id 0
		.amdhsa_next_free_vgpr 27
		.amdhsa_next_free_sgpr 26
		.amdhsa_reserve_vcc 1
		.amdhsa_reserve_flat_scratch 0
		.amdhsa_float_round_mode_32 0
		.amdhsa_float_round_mode_16_64 0
		.amdhsa_float_denorm_mode_32 3
		.amdhsa_float_denorm_mode_16_64 3
		.amdhsa_dx10_clamp 1
		.amdhsa_ieee_mode 1
		.amdhsa_fp16_overflow 0
		.amdhsa_exception_fp_ieee_invalid_op 0
		.amdhsa_exception_fp_denorm_src 0
		.amdhsa_exception_fp_ieee_div_zero 0
		.amdhsa_exception_fp_ieee_overflow 0
		.amdhsa_exception_fp_ieee_underflow 0
		.amdhsa_exception_fp_ieee_inexact 0
		.amdhsa_exception_int_div_zero 0
	.end_amdhsa_kernel
	.section	.text._Z11contractionIfEvPKT_S2_PS0_iii,"axG",@progbits,_Z11contractionIfEvPKT_S2_PS0_iii,comdat
.Lfunc_end0:
	.size	_Z11contractionIfEvPKT_S2_PS0_iii, .Lfunc_end0-_Z11contractionIfEvPKT_S2_PS0_iii
                                        ; -- End function
	.set _Z11contractionIfEvPKT_S2_PS0_iii.num_vgpr, 27
	.set _Z11contractionIfEvPKT_S2_PS0_iii.num_agpr, 0
	.set _Z11contractionIfEvPKT_S2_PS0_iii.numbered_sgpr, 26
	.set _Z11contractionIfEvPKT_S2_PS0_iii.num_named_barrier, 0
	.set _Z11contractionIfEvPKT_S2_PS0_iii.private_seg_size, 0
	.set _Z11contractionIfEvPKT_S2_PS0_iii.uses_vcc, 1
	.set _Z11contractionIfEvPKT_S2_PS0_iii.uses_flat_scratch, 0
	.set _Z11contractionIfEvPKT_S2_PS0_iii.has_dyn_sized_stack, 0
	.set _Z11contractionIfEvPKT_S2_PS0_iii.has_recursion, 0
	.set _Z11contractionIfEvPKT_S2_PS0_iii.has_indirect_call, 0
	.section	.AMDGPU.csdata,"",@progbits
; Kernel info:
; codeLenInByte = 3912
; TotalNumSgprs: 30
; NumVgprs: 27
; ScratchSize: 0
; MemoryBound: 0
; FloatMode: 240
; IeeeMode: 1
; LDSByteSize: 0 bytes/workgroup (compile time only)
; SGPRBlocks: 3
; VGPRBlocks: 6
; NumSGPRsForWavesPerEU: 30
; NumVGPRsForWavesPerEU: 27
; Occupancy: 9
; WaveLimiterHint : 0
; COMPUTE_PGM_RSRC2:SCRATCH_EN: 0
; COMPUTE_PGM_RSRC2:USER_SGPR: 6
; COMPUTE_PGM_RSRC2:TRAP_HANDLER: 0
; COMPUTE_PGM_RSRC2:TGID_X_EN: 1
; COMPUTE_PGM_RSRC2:TGID_Y_EN: 0
; COMPUTE_PGM_RSRC2:TGID_Z_EN: 0
; COMPUTE_PGM_RSRC2:TIDIG_COMP_CNT: 0
	.section	.text._Z11contractionIdEvPKT_S2_PS0_iii,"axG",@progbits,_Z11contractionIdEvPKT_S2_PS0_iii,comdat
	.protected	_Z11contractionIdEvPKT_S2_PS0_iii ; -- Begin function _Z11contractionIdEvPKT_S2_PS0_iii
	.globl	_Z11contractionIdEvPKT_S2_PS0_iii
	.p2align	8
	.type	_Z11contractionIdEvPKT_S2_PS0_iii,@function
_Z11contractionIdEvPKT_S2_PS0_iii:      ; @_Z11contractionIdEvPKT_S2_PS0_iii
; %bb.0:
	s_load_dword s7, s[4:5], 0x34
	s_load_dwordx4 s[0:3], s[4:5], 0x18
	s_waitcnt lgkmcnt(0)
	s_and_b32 s3, s7, 0xffff
	s_mul_i32 s6, s6, s3
	v_add_u32_e32 v0, s6, v0
	v_cmp_gt_i32_e32 vcc, s0, v0
	s_and_saveexec_b64 s[6:7], vcc
	s_cbranch_execz .LBB1_117
; %bb.1:
	s_mul_i32 s0, s2, 18
	s_abs_i32 s3, s0
	v_cvt_f32_u32_e32 v1, s3
	s_sub_i32 s6, 0, s3
	v_sub_u32_e32 v4, 0, v0
	v_max_i32_e32 v4, v0, v4
	v_rcp_iflag_f32_e32 v1, v1
	s_abs_i32 s14, s2
	v_cvt_f32_u32_e32 v2, s14
	v_xor_b32_e32 v5, s0, v0
	v_mul_f32_e32 v1, 0x4f7ffffe, v1
	v_cvt_u32_f32_e32 v1, v1
	v_rcp_iflag_f32_e32 v2, v2
	v_ashrrev_i32_e32 v23, 31, v5
	s_mov_b32 s15, 0
	v_mul_lo_u32 v3, s6, v1
	v_mul_f32_e32 v2, 0x4f7ffffe, v2
	v_cvt_u32_f32_e32 v2, v2
	s_load_dwordx4 s[8:11], s[4:5], 0x0
	s_load_dwordx2 s[6:7], s[4:5], 0x10
	v_mul_hi_u32 v3, v1, v3
	s_sub_i32 s4, 0, s14
	v_mul_i32_i24_e32 v18, 18, v23
	s_waitcnt lgkmcnt(0)
	s_mov_b64 s[12:13], s[10:11]
	v_add_u32_e32 v1, v1, v3
	v_mul_hi_u32 v1, v4, v1
	v_mul_lo_u32 v3, s4, v2
	v_mul_lo_u32 v6, v1, s3
	v_add_u32_e32 v5, 1, v1
	v_mul_hi_u32 v3, v2, v3
	v_sub_u32_e32 v4, v4, v6
	v_cmp_le_u32_e32 vcc, s3, v4
	v_cndmask_b32_e32 v1, v1, v5, vcc
	v_subrev_u32_e32 v5, s3, v4
	v_cndmask_b32_e32 v4, v4, v5, vcc
	v_add_u32_e32 v5, 1, v1
	v_cmp_le_u32_e32 vcc, s3, v4
	v_cndmask_b32_e32 v1, v1, v5, vcc
	v_xor_b32_e32 v24, v1, v23
	v_sub_u32_e32 v4, v24, v23
	v_mul_lo_u32 v1, v4, s0
	s_abs_i32 s0, s1
	v_cvt_f32_u32_e32 v5, s0
	v_add_u32_e32 v2, v2, v3
	v_sub_u32_e32 v12, v0, v1
	v_sub_u32_e32 v1, 0, v12
	v_max_i32_e32 v1, v12, v1
	v_mul_hi_u32 v2, v1, v2
	v_rcp_iflag_f32_e32 v3, v5
	v_xor_b32_e32 v6, s2, v12
	v_ashrrev_i32_e32 v15, 31, v6
	v_mul_lo_u32 v5, v2, s14
	v_mul_f32_e32 v3, 0x4f7ffffe, v3
	v_cvt_u32_f32_e32 v3, v3
	v_add_u32_e32 v6, 1, v2
	v_sub_u32_e32 v1, v1, v5
	v_cmp_le_u32_e32 vcc, s14, v1
	s_sub_i32 s3, 0, s0
	v_cndmask_b32_e32 v2, v2, v6, vcc
	v_subrev_u32_e32 v5, s14, v1
	v_mul_lo_u32 v6, s3, v3
	v_cndmask_b32_e32 v1, v1, v5, vcc
	v_add_u32_e32 v5, 1, v2
	v_cmp_le_u32_e32 vcc, s14, v1
	v_cndmask_b32_e32 v1, v2, v5, vcc
	v_xor_b32_e32 v16, v1, v15
	v_mul_hi_u32 v1, v3, v6
	v_sub_u32_e32 v2, 0, v4
	v_max_i32_e32 v9, v4, v2
	v_mul_lo_u32 v13, s1, v4
	v_add_u32_e32 v1, v3, v1
	v_mad_u64_u32 v[5:6], s[4:5], v9, v1, 0
	v_mul_lo_u32 v17, v24, 18
	v_sub_u32_e32 v22, v16, v15
	s_cmp_gt_i32 s1, 0
	v_cmp_eq_u32_e32 vcc, 0, v22
	s_cselect_b64 s[4:5], -1, 0
	v_mov_b32_e32 v2, 0
	s_and_b64 s[18:19], vcc, s[4:5]
	v_mov_b32_e32 v3, 0
	s_and_saveexec_b64 s[16:17], s[18:19]
	s_cbranch_execz .LBB1_8
; %bb.2:
	v_add3_u32 v1, v15, v13, v18
	v_sub_u32_e32 v1, v1, v16
	v_sub_u32_e32 v1, v1, v17
	v_mad_u64_u32 v[1:2], s[18:19], s2, v1, v[0:1]
	v_mov_b32_e32 v2, 0
	v_mov_b32_e32 v3, 0
	s_mov_b32 s3, 0
	s_branch .LBB1_4
.LBB1_3:                                ;   in Loop: Header=BB1_4 Depth=1
	s_add_i32 s3, s3, 1
	s_cmp_lg_u32 s3, s1
	s_cbranch_scc0 .LBB1_8
.LBB1_4:                                ; =>This Loop Header: Depth=1
                                        ;     Child Loop BB1_6 Depth 2
                                        ;       Child Loop BB1_7 Depth 3
	s_mul_i32 s20, s3, s1
	s_mov_b32 s21, 0
	s_branch .LBB1_6
.LBB1_5:                                ;   in Loop: Header=BB1_6 Depth=2
	s_add_i32 s21, s21, 1
	s_cmp_lg_u32 s21, s1
	s_cbranch_scc0 .LBB1_3
.LBB1_6:                                ;   Parent Loop BB1_4 Depth=1
                                        ; =>  This Loop Header: Depth=2
                                        ;       Child Loop BB1_7 Depth 3
	s_add_i32 s14, s21, s20
	s_lshl_b64 s[18:19], s[14:15], 3
	s_add_u32 s18, s10, s18
	s_addc_u32 s19, s11, s19
	s_load_dwordx2 s[18:19], s[18:19], 0x0
	v_mov_b32_e32 v7, v1
	s_mov_b32 s14, s1
	s_waitcnt lgkmcnt(0)
	v_cmp_ngt_f64_e64 s[22:23], s[18:19], 0
	s_and_b64 vcc, exec, s[22:23]
	s_cbranch_vccnz .LBB1_5
.LBB1_7:                                ;   Parent Loop BB1_4 Depth=1
                                        ;     Parent Loop BB1_6 Depth=2
                                        ; =>    This Inner Loop Header: Depth=3
	v_ashrrev_i32_e32 v8, 31, v7
	v_lshlrev_b64 v[10:11], 3, v[7:8]
	v_mov_b32_e32 v5, s9
	v_add_co_u32_e32 v10, vcc, s8, v10
	v_addc_co_u32_e32 v11, vcc, v5, v11, vcc
	global_load_dwordx2 v[10:11], v[10:11], off
	s_add_i32 s14, s14, -1
	s_cmp_lg_u32 s14, 0
	v_add_u32_e32 v7, s2, v7
	s_waitcnt vmcnt(0)
	v_fma_f64 v[2:3], s[18:19], v[10:11], v[2:3]
	s_cbranch_scc1 .LBB1_7
	s_branch .LBB1_5
.LBB1_8:
	s_or_b64 exec, exec, s[16:17]
	v_mul_lo_u32 v1, v6, s0
	v_add_u32_e32 v8, 1, v6
	v_ashrrev_i32_e32 v5, 31, v4
	s_ashr_i32 s3, s1, 31
	v_sub_u32_e32 v1, v9, v1
	v_cmp_le_u32_e32 vcc, s0, v1
	v_cndmask_b32_e32 v6, v6, v8, vcc
	v_subrev_u32_e32 v8, s0, v1
	v_cndmask_b32_e32 v1, v1, v8, vcc
	v_add_u32_e32 v8, 1, v6
	v_cmp_le_u32_e32 vcc, s0, v1
	v_xor_b32_e32 v7, s3, v5
	v_cndmask_b32_e32 v1, v6, v8, vcc
	v_xor_b32_e32 v1, v1, v7
	v_sub_u32_e32 v20, v1, v7
	v_mul_lo_u32 v19, v20, s1
	s_mul_i32 s3, s1, s1
	v_mul_lo_u32 v14, s3, v20
	v_add_u32_e32 v1, 1, v22
	v_sub_u32_e32 v21, v4, v19
	v_mul_lo_u32 v6, v21, s1
	v_cmp_eq_u32_e32 vcc, 2, v1
	s_mul_i32 s0, s2, s1
	s_and_b64 s[16:17], vcc, s[4:5]
	s_and_saveexec_b64 s[14:15], s[16:17]
	s_cbranch_execz .LBB1_16
; %bb.9:
	v_add3_u32 v7, v15, v14, v18
	v_sub_u32_e32 v7, v7, v16
	v_sub_u32_e32 v7, v7, v17
	v_mad_u64_u32 v[7:8], s[16:17], s2, v7, v[0:1]
	s_mov_b32 s3, 0
	v_mov_b32_e32 v25, s11
	s_branch .LBB1_11
.LBB1_10:                               ;   in Loop: Header=BB1_11 Depth=1
	s_or_b64 exec, exec, s[16:17]
	s_add_i32 s3, s3, 1
	s_cmp_lg_u32 s3, s1
	s_cbranch_scc0 .LBB1_16
.LBB1_11:                               ; =>This Loop Header: Depth=1
                                        ;     Child Loop BB1_13 Depth 2
                                        ;       Child Loop BB1_14 Depth 3
	v_add_u32_e32 v8, s3, v6
	v_ashrrev_i32_e32 v9, 31, v8
	v_lshlrev_b64 v[8:9], 3, v[8:9]
	v_add_co_u32_e32 v8, vcc, s10, v8
	v_addc_co_u32_e32 v9, vcc, v25, v9, vcc
	global_load_dwordx2 v[8:9], v[8:9], off
	s_waitcnt vmcnt(0)
	v_cmp_lt_f64_e32 vcc, 0, v[8:9]
	s_and_saveexec_b64 s[16:17], vcc
	s_cbranch_execz .LBB1_10
; %bb.12:                               ;   in Loop: Header=BB1_11 Depth=1
	s_mov_b32 s18, 0
	v_mov_b32_e32 v26, v7
.LBB1_13:                               ;   Parent Loop BB1_11 Depth=1
                                        ; =>  This Loop Header: Depth=2
                                        ;       Child Loop BB1_14 Depth 3
	v_mov_b32_e32 v10, v26
	s_mov_b32 s19, s1
.LBB1_14:                               ;   Parent Loop BB1_11 Depth=1
                                        ;     Parent Loop BB1_13 Depth=2
                                        ; =>    This Inner Loop Header: Depth=3
	v_ashrrev_i32_e32 v11, 31, v10
	v_lshlrev_b64 v[27:28], 3, v[10:11]
	v_mov_b32_e32 v11, s9
	v_add_co_u32_e32 v27, vcc, s8, v27
	v_addc_co_u32_e32 v28, vcc, v11, v28, vcc
	global_load_dwordx2 v[27:28], v[27:28], off
	s_add_i32 s19, s19, -1
	s_cmp_lg_u32 s19, 0
	v_add_u32_e32 v10, s2, v10
	s_waitcnt vmcnt(0)
	v_fma_f64 v[2:3], v[8:9], v[27:28], v[2:3]
	s_cbranch_scc1 .LBB1_14
; %bb.15:                               ;   in Loop: Header=BB1_13 Depth=2
	s_add_i32 s18, s18, 1
	s_cmp_lg_u32 s18, s1
	v_add_u32_e32 v26, s0, v26
	s_cbranch_scc1 .LBB1_13
	s_branch .LBB1_10
.LBB1_16:
	s_or_b64 exec, exec, s[14:15]
	v_cmp_eq_u32_e32 vcc, 3, v1
	s_mul_i32 s3, s0, s1
	s_and_b64 s[16:17], vcc, s[4:5]
	s_and_saveexec_b64 s[14:15], s[16:17]
	s_cbranch_execz .LBB1_23
; %bb.17:
	v_mad_i32_i24 v7, v23, 17, v15
	v_sub_u32_e32 v7, v7, v16
	v_lshl_add_u32 v8, v24, 4, v24
	v_sub_u32_e32 v7, v7, v8
	v_mad_u64_u32 v[7:8], s[16:17], s2, v7, v[0:1]
	s_mov_b32 s17, 0
	s_mov_b32 s20, 0
	s_branch .LBB1_19
.LBB1_18:                               ;   in Loop: Header=BB1_19 Depth=1
	s_add_i32 s20, s20, 1
	s_cmp_lg_u32 s20, s1
	s_cbranch_scc0 .LBB1_23
.LBB1_19:                               ; =>This Loop Header: Depth=1
                                        ;     Child Loop BB1_21 Depth 2
                                        ;       Child Loop BB1_22 Depth 3
	s_mul_i32 s21, s20, s1
	s_mov_b32 s22, s17
	s_branch .LBB1_21
.LBB1_20:                               ;   in Loop: Header=BB1_21 Depth=2
	s_add_i32 s22, s22, 1
	s_cmp_lg_u32 s22, s1
	s_cbranch_scc0 .LBB1_18
.LBB1_21:                               ;   Parent Loop BB1_19 Depth=1
                                        ; =>  This Loop Header: Depth=2
                                        ;       Child Loop BB1_22 Depth 3
	s_add_i32 s16, s22, s21
	s_lshl_b64 s[18:19], s[16:17], 3
	s_add_u32 s18, s10, s18
	s_addc_u32 s19, s11, s19
	s_load_dwordx2 s[18:19], s[18:19], 0x0
	v_mov_b32_e32 v8, v7
	s_mov_b32 s16, s1
	s_waitcnt lgkmcnt(0)
	v_cmp_ngt_f64_e64 s[24:25], s[18:19], 0
	s_and_b64 vcc, exec, s[24:25]
	s_cbranch_vccnz .LBB1_20
.LBB1_22:                               ;   Parent Loop BB1_19 Depth=1
                                        ;     Parent Loop BB1_21 Depth=2
                                        ; =>    This Inner Loop Header: Depth=3
	v_ashrrev_i32_e32 v9, 31, v8
	v_lshlrev_b64 v[9:10], 3, v[8:9]
	v_mov_b32_e32 v11, s9
	v_add_co_u32_e32 v9, vcc, s8, v9
	v_addc_co_u32_e32 v10, vcc, v11, v10, vcc
	global_load_dwordx2 v[9:10], v[9:10], off
	s_add_i32 s16, s16, -1
	s_cmp_lg_u32 s16, 0
	v_add_u32_e32 v8, s3, v8
	s_waitcnt vmcnt(0)
	v_fma_f64 v[2:3], s[18:19], v[9:10], v[2:3]
	s_cbranch_scc1 .LBB1_22
	s_branch .LBB1_20
.LBB1_23:
	s_or_b64 exec, exec, s[14:15]
	v_cmp_eq_u32_e32 vcc, 4, v1
	s_and_b64 s[16:17], vcc, s[4:5]
	s_and_saveexec_b64 s[14:15], s[16:17]
	s_cbranch_execz .LBB1_31
; %bb.24:
	v_add3_u32 v7, v15, v19, v18
	v_sub_u32_e32 v7, v7, v16
	v_sub_u32_e32 v7, v7, v17
	v_mad_u64_u32 v[7:8], s[16:17], s2, v7, v[0:1]
	s_mov_b32 s18, 0
	v_mov_b32_e32 v23, s11
	s_branch .LBB1_26
.LBB1_25:                               ;   in Loop: Header=BB1_26 Depth=1
	s_or_b64 exec, exec, s[16:17]
	s_add_i32 s18, s18, 1
	s_cmp_lg_u32 s18, s1
	s_cbranch_scc0 .LBB1_31
.LBB1_26:                               ; =>This Loop Header: Depth=1
                                        ;     Child Loop BB1_28 Depth 2
                                        ;       Child Loop BB1_29 Depth 3
	v_add_u32_e32 v8, s18, v6
	v_ashrrev_i32_e32 v9, 31, v8
	v_lshlrev_b64 v[8:9], 3, v[8:9]
	v_add_co_u32_e32 v8, vcc, s10, v8
	v_addc_co_u32_e32 v9, vcc, v23, v9, vcc
	global_load_dwordx2 v[8:9], v[8:9], off
	s_waitcnt vmcnt(0)
	v_cmp_lt_f64_e32 vcc, 0, v[8:9]
	s_and_saveexec_b64 s[16:17], vcc
	s_cbranch_execz .LBB1_25
; %bb.27:                               ;   in Loop: Header=BB1_26 Depth=1
	s_mov_b32 s19, 0
	v_mov_b32_e32 v24, v7
.LBB1_28:                               ;   Parent Loop BB1_26 Depth=1
                                        ; =>  This Loop Header: Depth=2
                                        ;       Child Loop BB1_29 Depth 3
	v_mov_b32_e32 v10, v24
	s_mov_b32 s20, s1
.LBB1_29:                               ;   Parent Loop BB1_26 Depth=1
                                        ;     Parent Loop BB1_28 Depth=2
                                        ; =>    This Inner Loop Header: Depth=3
	v_ashrrev_i32_e32 v11, 31, v10
	v_lshlrev_b64 v[25:26], 3, v[10:11]
	v_mov_b32_e32 v11, s9
	v_add_co_u32_e32 v25, vcc, s8, v25
	v_addc_co_u32_e32 v26, vcc, v11, v26, vcc
	global_load_dwordx2 v[25:26], v[25:26], off
	s_add_i32 s20, s20, -1
	s_cmp_lg_u32 s20, 0
	v_add_u32_e32 v10, s2, v10
	s_waitcnt vmcnt(0)
	v_fma_f64 v[2:3], v[8:9], v[25:26], v[2:3]
	s_cbranch_scc1 .LBB1_29
; %bb.30:                               ;   in Loop: Header=BB1_28 Depth=2
	s_add_i32 s19, s19, 1
	s_cmp_lg_u32 s19, s1
	v_add_u32_e32 v24, s3, v24
	s_cbranch_scc1 .LBB1_28
	s_branch .LBB1_25
.LBB1_31:
	s_or_b64 exec, exec, s[14:15]
	v_mul_lo_u32 v7, v22, s2
	v_cmp_eq_u32_e32 vcc, 5, v1
	v_sub_u32_e32 v8, v12, v7
	s_and_saveexec_b64 s[14:15], vcc
	s_cbranch_execz .LBB1_40
; %bb.32:
	v_lshlrev_b64 v[9:10], 3, v[4:5]
	v_mov_b32_e32 v7, s11
	v_add_co_u32_e32 v9, vcc, s10, v9
	v_addc_co_u32_e32 v10, vcc, v7, v10, vcc
	global_load_dwordx2 v[9:10], v[9:10], off
	s_waitcnt vmcnt(0)
	v_cmp_lt_f64_e32 vcc, 0, v[9:10]
	s_and_b64 s[18:19], vcc, s[4:5]
	s_and_saveexec_b64 s[16:17], s[18:19]
	s_cbranch_execz .LBB1_39
; %bb.33:
	s_mov_b32 s18, 0
	v_mov_b32_e32 v7, s9
	v_mov_b32_e32 v22, v8
.LBB1_34:                               ; =>This Loop Header: Depth=1
                                        ;     Child Loop BB1_35 Depth 2
                                        ;       Child Loop BB1_36 Depth 3
	v_mov_b32_e32 v23, v22
	s_mov_b32 s19, 0
.LBB1_35:                               ;   Parent Loop BB1_34 Depth=1
                                        ; =>  This Loop Header: Depth=2
                                        ;       Child Loop BB1_36 Depth 3
	v_mov_b32_e32 v11, v23
	s_mov_b32 s20, s1
.LBB1_36:                               ;   Parent Loop BB1_34 Depth=1
                                        ;     Parent Loop BB1_35 Depth=2
                                        ; =>    This Inner Loop Header: Depth=3
	v_ashrrev_i32_e32 v12, 31, v11
	v_lshlrev_b64 v[24:25], 3, v[11:12]
	s_add_i32 s20, s20, -1
	v_add_co_u32_e32 v24, vcc, s8, v24
	v_addc_co_u32_e32 v25, vcc, v7, v25, vcc
	global_load_dwordx2 v[24:25], v[24:25], off
	s_cmp_lg_u32 s20, 0
	v_add_u32_e32 v11, s2, v11
	s_waitcnt vmcnt(0)
	v_fma_f64 v[2:3], v[9:10], v[24:25], v[2:3]
	s_cbranch_scc1 .LBB1_36
; %bb.37:                               ;   in Loop: Header=BB1_35 Depth=2
	s_add_i32 s19, s19, 1
	s_cmp_lg_u32 s19, s1
	v_add_u32_e32 v23, s0, v23
	s_cbranch_scc1 .LBB1_35
; %bb.38:                               ;   in Loop: Header=BB1_34 Depth=1
	s_add_i32 s18, s18, 1
	s_cmp_lg_u32 s18, s1
	v_add_u32_e32 v22, s3, v22
	s_cbranch_scc1 .LBB1_34
.LBB1_39:
	s_or_b64 exec, exec, s[16:17]
.LBB1_40:
	s_or_b64 exec, exec, s[14:15]
	v_cmp_eq_u32_e32 vcc, 6, v1
	s_and_b64 s[16:17], vcc, s[4:5]
	s_and_saveexec_b64 s[14:15], s[16:17]
	s_cbranch_execz .LBB1_45
; %bb.41:
	v_mul_lo_u32 v7, v20, s3
	v_mul_lo_u32 v9, v21, s0
	s_mov_b32 s17, 0
	s_mov_b32 s16, s1
	s_lshl_b64 s[18:19], s[16:17], 3
	v_add3_u32 v7, v9, v8, v7
	v_mov_b32_e32 v11, s9
	s_mov_b64 s[20:21], s[12:13]
.LBB1_42:                               ; =>This Loop Header: Depth=1
                                        ;     Child Loop BB1_43 Depth 2
	s_mul_i32 s16, s17, s2
	v_add_u32_e32 v9, s16, v7
	v_ashrrev_i32_e32 v10, 31, v9
	v_lshlrev_b64 v[9:10], 3, v[9:10]
	s_mov_b64 s[22:23], s[20:21]
	v_add_co_u32_e32 v9, vcc, s8, v9
	v_addc_co_u32_e32 v10, vcc, v11, v10, vcc
	global_load_dwordx2 v[9:10], v[9:10], off
	s_mov_b32 s16, s1
.LBB1_43:                               ;   Parent Loop BB1_42 Depth=1
                                        ; =>  This Inner Loop Header: Depth=2
	s_load_dwordx2 s[24:25], s[22:23], 0x0
	s_add_i32 s16, s16, -1
	s_add_u32 s22, s22, 8
	s_addc_u32 s23, s23, 0
	s_cmp_lg_u32 s16, 0
	s_waitcnt vmcnt(0) lgkmcnt(0)
	v_fma_f64 v[2:3], s[24:25], v[9:10], v[2:3]
	s_cbranch_scc1 .LBB1_43
; %bb.44:                               ;   in Loop: Header=BB1_42 Depth=1
	s_add_i32 s17, s17, 1
	s_add_u32 s20, s20, s18
	s_addc_u32 s21, s21, s19
	s_cmp_lg_u32 s17, s1
	s_cbranch_scc1 .LBB1_42
.LBB1_45:
	s_or_b64 exec, exec, s[14:15]
	v_cmp_eq_u32_e32 vcc, 7, v1
	s_and_b64 s[16:17], vcc, s[4:5]
	s_and_saveexec_b64 s[14:15], s[16:17]
	s_cbranch_execz .LBB1_50
; %bb.46:
	v_add3_u32 v7, v15, v13, v18
	v_sub_u32_e32 v7, v7, v16
	v_sub_u32_e32 v7, v7, v17
	v_mad_u64_u32 v[9:10], s[16:17], s2, v7, v[0:1]
	s_add_i32 s18, s1, 1
	s_mov_b32 s19, 0
	s_branch .LBB1_48
.LBB1_47:                               ;   in Loop: Header=BB1_48 Depth=1
	s_add_i32 s19, s19, 1
	s_cmp_lg_u32 s19, s1
	s_cbranch_scc0 .LBB1_50
.LBB1_48:                               ; =>This Loop Header: Depth=1
                                        ;     Child Loop BB1_49 Depth 2
	s_mul_i32 s16, s19, s18
	s_ashr_i32 s17, s16, 31
	s_lshl_b64 s[16:17], s[16:17], 3
	s_add_u32 s16, s10, s16
	s_addc_u32 s17, s11, s17
	s_load_dwordx2 s[16:17], s[16:17], 0x0
	v_mov_b32_e32 v10, v9
	s_waitcnt lgkmcnt(0)
	v_cmp_ngt_f64_e64 s[20:21], s[16:17], 0
	s_and_b64 vcc, exec, s[20:21]
	s_mov_b32 s20, s1
	s_cbranch_vccnz .LBB1_47
.LBB1_49:                               ;   Parent Loop BB1_48 Depth=1
                                        ; =>  This Inner Loop Header: Depth=2
	v_ashrrev_i32_e32 v11, 31, v10
	v_lshlrev_b64 v[11:12], 3, v[10:11]
	v_mov_b32_e32 v7, s9
	v_add_co_u32_e32 v11, vcc, s8, v11
	v_addc_co_u32_e32 v12, vcc, v7, v12, vcc
	global_load_dwordx2 v[11:12], v[11:12], off
	s_add_i32 s20, s20, -1
	s_cmp_lg_u32 s20, 0
	v_add_u32_e32 v10, s2, v10
	s_waitcnt vmcnt(0)
	v_fma_f64 v[2:3], s[16:17], v[11:12], v[2:3]
	s_cbranch_scc1 .LBB1_49
	s_branch .LBB1_47
.LBB1_50:
	s_or_b64 exec, exec, s[14:15]
	v_cmp_eq_u32_e32 vcc, 8, v1
	s_and_b64 s[16:17], vcc, s[4:5]
	s_and_saveexec_b64 s[14:15], s[16:17]
	s_cbranch_execz .LBB1_56
; %bb.51:
	v_add3_u32 v7, v15, v14, v18
	v_sub_u32_e32 v7, v7, v16
	v_sub_u32_e32 v7, v7, v17
	v_mad_u64_u32 v[9:10], s[16:17], s2, v7, v[0:1]
	s_add_i32 s18, s0, s2
	s_mov_b32 s19, 0
	v_mov_b32_e32 v7, s11
	s_branch .LBB1_53
.LBB1_52:                               ;   in Loop: Header=BB1_53 Depth=1
	s_or_b64 exec, exec, s[16:17]
	s_add_i32 s19, s19, 1
	s_cmp_lg_u32 s19, s1
	s_cbranch_scc0 .LBB1_56
.LBB1_53:                               ; =>This Loop Header: Depth=1
                                        ;     Child Loop BB1_55 Depth 2
	v_add_u32_e32 v10, s19, v6
	v_ashrrev_i32_e32 v11, 31, v10
	v_lshlrev_b64 v[10:11], 3, v[10:11]
	v_add_co_u32_e32 v10, vcc, s10, v10
	v_addc_co_u32_e32 v11, vcc, v7, v11, vcc
	global_load_dwordx2 v[10:11], v[10:11], off
	s_waitcnt vmcnt(0)
	v_cmp_lt_f64_e32 vcc, 0, v[10:11]
	s_and_saveexec_b64 s[16:17], vcc
	s_cbranch_execz .LBB1_52
; %bb.54:                               ;   in Loop: Header=BB1_53 Depth=1
	v_mov_b32_e32 v12, v9
	s_mov_b32 s20, s1
.LBB1_55:                               ;   Parent Loop BB1_53 Depth=1
                                        ; =>  This Inner Loop Header: Depth=2
	v_ashrrev_i32_e32 v13, 31, v12
	v_lshlrev_b64 v[22:23], 3, v[12:13]
	v_mov_b32_e32 v13, s9
	v_add_co_u32_e32 v22, vcc, s8, v22
	v_addc_co_u32_e32 v23, vcc, v13, v23, vcc
	global_load_dwordx2 v[22:23], v[22:23], off
	s_add_i32 s20, s20, -1
	s_cmp_lg_u32 s20, 0
	v_add_u32_e32 v12, s18, v12
	s_waitcnt vmcnt(0)
	v_fma_f64 v[2:3], v[10:11], v[22:23], v[2:3]
	s_cbranch_scc1 .LBB1_55
	s_branch .LBB1_52
.LBB1_56:
	s_or_b64 exec, exec, s[14:15]
	v_cmp_eq_u32_e32 vcc, 9, v1
	s_and_b64 s[16:17], vcc, s[4:5]
	s_and_saveexec_b64 s[14:15], s[16:17]
	s_cbranch_execz .LBB1_62
; %bb.57:
	v_add3_u32 v7, v15, v14, v18
	v_sub_u32_e32 v7, v7, v16
	v_sub_u32_e32 v7, v7, v17
	v_mad_u64_u32 v[9:10], s[16:17], s2, v7, v[0:1]
	s_mov_b32 s18, 0
	v_mov_b32_e32 v7, s11
	s_branch .LBB1_59
.LBB1_58:                               ;   in Loop: Header=BB1_59 Depth=1
	s_or_b64 exec, exec, s[16:17]
	s_add_i32 s18, s18, 1
	s_cmp_lg_u32 s18, s1
	v_add_u32_e32 v9, s0, v9
	s_cbranch_scc0 .LBB1_62
.LBB1_59:                               ; =>This Loop Header: Depth=1
                                        ;     Child Loop BB1_61 Depth 2
	v_add_u32_e32 v10, s18, v6
	v_ashrrev_i32_e32 v11, 31, v10
	v_lshlrev_b64 v[10:11], 3, v[10:11]
	v_add_co_u32_e32 v10, vcc, s10, v10
	v_addc_co_u32_e32 v11, vcc, v7, v11, vcc
	global_load_dwordx2 v[10:11], v[10:11], off
	s_waitcnt vmcnt(0)
	v_cmp_lt_f64_e32 vcc, 0, v[10:11]
	s_and_saveexec_b64 s[16:17], vcc
	s_cbranch_execz .LBB1_58
; %bb.60:                               ;   in Loop: Header=BB1_59 Depth=1
	v_mov_b32_e32 v12, v9
	s_mov_b32 s19, s1
.LBB1_61:                               ;   Parent Loop BB1_59 Depth=1
                                        ; =>  This Inner Loop Header: Depth=2
	v_ashrrev_i32_e32 v13, 31, v12
	v_lshlrev_b64 v[22:23], 3, v[12:13]
	v_mov_b32_e32 v13, s9
	v_add_co_u32_e32 v22, vcc, s8, v22
	v_addc_co_u32_e32 v23, vcc, v13, v23, vcc
	global_load_dwordx2 v[22:23], v[22:23], off
	s_add_i32 s19, s19, -1
	s_cmp_lg_u32 s19, 0
	v_add_u32_e32 v12, s2, v12
	s_waitcnt vmcnt(0)
	v_fma_f64 v[2:3], v[10:11], v[22:23], v[2:3]
	s_cbranch_scc1 .LBB1_61
	s_branch .LBB1_58
.LBB1_62:
	s_or_b64 exec, exec, s[14:15]
	v_cmp_eq_u32_e32 vcc, 10, v1
	s_and_b64 s[16:17], vcc, s[4:5]
	s_and_saveexec_b64 s[14:15], s[16:17]
	s_cbranch_execz .LBB1_69
; %bb.63:
	v_mul_lo_u32 v7, v20, s0
	v_mul_lo_u32 v9, v21, s2
	s_mov_b32 s17, 0
	s_mov_b32 s16, s1
	s_lshl_b64 s[18:19], s[16:17], 3
	v_add3_u32 v7, v9, v8, v7
	v_mov_b32_e32 v11, s9
	s_branch .LBB1_65
.LBB1_64:                               ;   in Loop: Header=BB1_65 Depth=1
	s_add_i32 s17, s17, 1
	s_add_u32 s12, s12, s18
	s_addc_u32 s13, s13, s19
	s_cmp_lg_u32 s17, s1
	s_cbranch_scc0 .LBB1_69
.LBB1_65:                               ; =>This Loop Header: Depth=1
                                        ;     Child Loop BB1_67 Depth 2
	s_mul_i32 s16, s17, s3
	v_add_u32_e32 v9, s16, v7
	v_ashrrev_i32_e32 v10, 31, v9
	v_lshlrev_b64 v[9:10], 3, v[9:10]
	s_mov_b64 s[20:21], s[12:13]
	v_add_co_u32_e32 v9, vcc, s8, v9
	v_addc_co_u32_e32 v10, vcc, v11, v10, vcc
	s_mov_b32 s16, s1
	s_branch .LBB1_67
.LBB1_66:                               ;   in Loop: Header=BB1_67 Depth=2
	s_add_i32 s16, s16, -1
	s_add_u32 s20, s20, 8
	s_addc_u32 s21, s21, 0
	s_cmp_lg_u32 s16, 0
	s_cbranch_scc0 .LBB1_64
.LBB1_67:                               ;   Parent Loop BB1_65 Depth=1
                                        ; =>  This Inner Loop Header: Depth=2
	s_load_dwordx2 s[22:23], s[20:21], 0x0
	s_waitcnt lgkmcnt(0)
	v_cmp_ngt_f64_e64 s[24:25], s[22:23], 0
	s_and_b64 vcc, exec, s[24:25]
	s_cbranch_vccnz .LBB1_66
; %bb.68:                               ;   in Loop: Header=BB1_67 Depth=2
	global_load_dwordx2 v[12:13], v[9:10], off
	s_waitcnt vmcnt(0)
	v_fma_f64 v[2:3], s[22:23], v[12:13], v[2:3]
	s_branch .LBB1_66
.LBB1_69:
	s_or_b64 exec, exec, s[14:15]
	v_cmp_eq_u32_e32 vcc, 11, v1
	s_and_b64 s[14:15], vcc, s[4:5]
	s_and_saveexec_b64 s[12:13], s[14:15]
	s_cbranch_execz .LBB1_75
; %bb.70:
	v_add3_u32 v7, v15, v19, v18
	v_sub_u32_e32 v7, v7, v16
	v_sub_u32_e32 v7, v7, v17
	v_mad_u64_u32 v[9:10], s[14:15], s2, v7, v[0:1]
	s_add_i32 s16, s3, s2
	s_mov_b32 s17, 0
	v_mov_b32_e32 v7, s11
	s_branch .LBB1_72
.LBB1_71:                               ;   in Loop: Header=BB1_72 Depth=1
	s_or_b64 exec, exec, s[14:15]
	s_add_i32 s17, s17, 1
	s_cmp_lg_u32 s17, s1
	s_cbranch_scc0 .LBB1_75
.LBB1_72:                               ; =>This Loop Header: Depth=1
                                        ;     Child Loop BB1_74 Depth 2
	v_add_u32_e32 v10, s17, v6
	v_ashrrev_i32_e32 v11, 31, v10
	v_lshlrev_b64 v[10:11], 3, v[10:11]
	v_add_co_u32_e32 v10, vcc, s10, v10
	v_addc_co_u32_e32 v11, vcc, v7, v11, vcc
	global_load_dwordx2 v[10:11], v[10:11], off
	s_waitcnt vmcnt(0)
	v_cmp_lt_f64_e32 vcc, 0, v[10:11]
	s_and_saveexec_b64 s[14:15], vcc
	s_cbranch_execz .LBB1_71
; %bb.73:                               ;   in Loop: Header=BB1_72 Depth=1
	v_mov_b32_e32 v12, v9
	s_mov_b32 s18, s1
.LBB1_74:                               ;   Parent Loop BB1_72 Depth=1
                                        ; =>  This Inner Loop Header: Depth=2
	v_ashrrev_i32_e32 v13, 31, v12
	v_lshlrev_b64 v[20:21], 3, v[12:13]
	v_mov_b32_e32 v13, s9
	v_add_co_u32_e32 v20, vcc, s8, v20
	v_addc_co_u32_e32 v21, vcc, v13, v21, vcc
	global_load_dwordx2 v[20:21], v[20:21], off
	s_add_i32 s18, s18, -1
	s_cmp_lg_u32 s18, 0
	v_add_u32_e32 v12, s16, v12
	s_waitcnt vmcnt(0)
	v_fma_f64 v[2:3], v[10:11], v[20:21], v[2:3]
	s_cbranch_scc1 .LBB1_74
	s_branch .LBB1_71
.LBB1_75:
	s_or_b64 exec, exec, s[12:13]
	v_cmp_eq_u32_e32 vcc, 12, v1
	s_and_b64 s[14:15], vcc, s[4:5]
	s_and_saveexec_b64 s[12:13], s[14:15]
	s_cbranch_execz .LBB1_81
; %bb.76:
	v_add3_u32 v7, v15, v19, v18
	v_sub_u32_e32 v7, v7, v16
	v_sub_u32_e32 v7, v7, v17
	v_mad_u64_u32 v[9:10], s[14:15], s2, v7, v[0:1]
	s_mov_b32 s16, 0
	v_mov_b32_e32 v7, s11
	s_branch .LBB1_78
.LBB1_77:                               ;   in Loop: Header=BB1_78 Depth=1
	s_or_b64 exec, exec, s[14:15]
	s_add_i32 s16, s16, 1
	s_cmp_lg_u32 s16, s1
	v_add_u32_e32 v9, s3, v9
	s_cbranch_scc0 .LBB1_81
.LBB1_78:                               ; =>This Loop Header: Depth=1
                                        ;     Child Loop BB1_80 Depth 2
	v_add_u32_e32 v10, s16, v6
	v_ashrrev_i32_e32 v11, 31, v10
	v_lshlrev_b64 v[10:11], 3, v[10:11]
	v_add_co_u32_e32 v10, vcc, s10, v10
	v_addc_co_u32_e32 v11, vcc, v7, v11, vcc
	global_load_dwordx2 v[10:11], v[10:11], off
	s_waitcnt vmcnt(0)
	v_cmp_lt_f64_e32 vcc, 0, v[10:11]
	s_and_saveexec_b64 s[14:15], vcc
	s_cbranch_execz .LBB1_77
; %bb.79:                               ;   in Loop: Header=BB1_78 Depth=1
	v_mov_b32_e32 v12, v9
	s_mov_b32 s17, s1
.LBB1_80:                               ;   Parent Loop BB1_78 Depth=1
                                        ; =>  This Inner Loop Header: Depth=2
	v_ashrrev_i32_e32 v13, 31, v12
	v_lshlrev_b64 v[20:21], 3, v[12:13]
	v_mov_b32_e32 v13, s9
	v_add_co_u32_e32 v20, vcc, s8, v20
	v_addc_co_u32_e32 v21, vcc, v13, v21, vcc
	global_load_dwordx2 v[20:21], v[20:21], off
	s_add_i32 s17, s17, -1
	s_cmp_lg_u32 s17, 0
	v_add_u32_e32 v12, s2, v12
	s_waitcnt vmcnt(0)
	v_fma_f64 v[2:3], v[10:11], v[20:21], v[2:3]
	s_cbranch_scc1 .LBB1_80
	s_branch .LBB1_77
.LBB1_81:
	s_or_b64 exec, exec, s[12:13]
	v_cmp_eq_u32_e32 vcc, 13, v1
	s_and_b64 s[14:15], vcc, s[4:5]
	s_and_saveexec_b64 s[12:13], s[14:15]
	s_cbranch_execz .LBB1_87
; %bb.82:
	v_add3_u32 v7, v15, v19, v18
	v_sub_u32_e32 v7, v7, v16
	v_sub_u32_e32 v7, v7, v17
	v_mad_u64_u32 v[9:10], s[14:15], s2, v7, v[0:1]
	s_mov_b32 s16, 0
	v_mov_b32_e32 v7, s11
	s_branch .LBB1_84
.LBB1_83:                               ;   in Loop: Header=BB1_84 Depth=1
	s_or_b64 exec, exec, s[14:15]
	s_add_i32 s16, s16, 1
	s_cmp_lg_u32 s16, s1
	v_add_u32_e32 v9, s2, v9
	s_cbranch_scc0 .LBB1_87
.LBB1_84:                               ; =>This Loop Header: Depth=1
                                        ;     Child Loop BB1_86 Depth 2
	v_add_u32_e32 v10, s16, v6
	v_ashrrev_i32_e32 v11, 31, v10
	v_lshlrev_b64 v[10:11], 3, v[10:11]
	v_add_co_u32_e32 v10, vcc, s10, v10
	v_addc_co_u32_e32 v11, vcc, v7, v11, vcc
	global_load_dwordx2 v[10:11], v[10:11], off
	s_waitcnt vmcnt(0)
	v_cmp_lt_f64_e32 vcc, 0, v[10:11]
	s_and_saveexec_b64 s[14:15], vcc
	s_cbranch_execz .LBB1_83
; %bb.85:                               ;   in Loop: Header=BB1_84 Depth=1
	v_mov_b32_e32 v12, v9
	s_mov_b32 s17, s1
.LBB1_86:                               ;   Parent Loop BB1_84 Depth=1
                                        ; =>  This Inner Loop Header: Depth=2
	v_ashrrev_i32_e32 v13, 31, v12
	v_lshlrev_b64 v[20:21], 3, v[12:13]
	v_mov_b32_e32 v13, s9
	v_add_co_u32_e32 v20, vcc, s8, v20
	v_addc_co_u32_e32 v21, vcc, v13, v21, vcc
	global_load_dwordx2 v[20:21], v[20:21], off
	s_add_i32 s17, s17, -1
	s_cmp_lg_u32 s17, 0
	v_add_u32_e32 v12, s3, v12
	s_waitcnt vmcnt(0)
	v_fma_f64 v[2:3], v[10:11], v[20:21], v[2:3]
	s_cbranch_scc1 .LBB1_86
	s_branch .LBB1_83
.LBB1_87:
	s_or_b64 exec, exec, s[12:13]
	v_cmp_eq_u32_e32 vcc, 14, v1
	s_and_saveexec_b64 s[12:13], vcc
	s_cbranch_execz .LBB1_94
; %bb.88:
	v_lshlrev_b64 v[9:10], 3, v[4:5]
	v_mov_b32_e32 v7, s11
	v_add_co_u32_e32 v9, vcc, s10, v9
	v_addc_co_u32_e32 v10, vcc, v7, v10, vcc
	global_load_dwordx2 v[9:10], v[9:10], off
	s_waitcnt vmcnt(0)
	v_cmp_lt_f64_e32 vcc, 0, v[9:10]
	s_and_b64 s[16:17], vcc, s[4:5]
	s_and_saveexec_b64 s[14:15], s[16:17]
	s_cbranch_execz .LBB1_93
; %bb.89:
	s_add_i32 s16, s3, s0
	s_mov_b32 s17, 0
	v_mov_b32_e32 v7, s9
	v_mov_b32_e32 v13, v8
.LBB1_90:                               ; =>This Loop Header: Depth=1
                                        ;     Child Loop BB1_91 Depth 2
	v_mov_b32_e32 v11, v13
	s_mov_b32 s18, s1
.LBB1_91:                               ;   Parent Loop BB1_90 Depth=1
                                        ; =>  This Inner Loop Header: Depth=2
	v_ashrrev_i32_e32 v12, 31, v11
	v_lshlrev_b64 v[20:21], 3, v[11:12]
	s_add_i32 s18, s18, -1
	v_add_co_u32_e32 v20, vcc, s8, v20
	v_addc_co_u32_e32 v21, vcc, v7, v21, vcc
	global_load_dwordx2 v[20:21], v[20:21], off
	s_cmp_eq_u32 s18, 0
	v_add_u32_e32 v11, s2, v11
	s_waitcnt vmcnt(0)
	v_fma_f64 v[2:3], v[9:10], v[20:21], v[2:3]
	s_cbranch_scc0 .LBB1_91
; %bb.92:                               ;   in Loop: Header=BB1_90 Depth=1
	s_add_i32 s17, s17, 1
	s_cmp_eq_u32 s17, s1
	v_add_u32_e32 v13, s16, v13
	s_cbranch_scc0 .LBB1_90
.LBB1_93:
	s_or_b64 exec, exec, s[14:15]
.LBB1_94:
	s_or_b64 exec, exec, s[12:13]
	v_cmp_eq_u32_e32 vcc, 15, v1
	s_and_saveexec_b64 s[12:13], vcc
	s_cbranch_execz .LBB1_101
; %bb.95:
	v_lshlrev_b64 v[9:10], 3, v[4:5]
	v_mov_b32_e32 v7, s11
	v_add_co_u32_e32 v9, vcc, s10, v9
	v_addc_co_u32_e32 v10, vcc, v7, v10, vcc
	global_load_dwordx2 v[9:10], v[9:10], off
	s_waitcnt vmcnt(0)
	v_cmp_lt_f64_e32 vcc, 0, v[9:10]
	s_and_b64 s[16:17], vcc, s[4:5]
	s_and_saveexec_b64 s[14:15], s[16:17]
	s_cbranch_execz .LBB1_100
; %bb.96:
	s_add_i32 s16, s0, s2
	s_mov_b32 s17, 0
	v_mov_b32_e32 v7, s9
	v_mov_b32_e32 v13, v8
.LBB1_97:                               ; =>This Loop Header: Depth=1
                                        ;     Child Loop BB1_98 Depth 2
	v_mov_b32_e32 v11, v13
	s_mov_b32 s18, s1
.LBB1_98:                               ;   Parent Loop BB1_97 Depth=1
                                        ; =>  This Inner Loop Header: Depth=2
	v_ashrrev_i32_e32 v12, 31, v11
	v_lshlrev_b64 v[20:21], 3, v[11:12]
	s_add_i32 s18, s18, -1
	v_add_co_u32_e32 v20, vcc, s8, v20
	v_addc_co_u32_e32 v21, vcc, v7, v21, vcc
	global_load_dwordx2 v[20:21], v[20:21], off
	s_cmp_eq_u32 s18, 0
	v_add_u32_e32 v11, s3, v11
	s_waitcnt vmcnt(0)
	v_fma_f64 v[2:3], v[9:10], v[20:21], v[2:3]
	s_cbranch_scc0 .LBB1_98
; %bb.99:                               ;   in Loop: Header=BB1_97 Depth=1
	s_add_i32 s17, s17, 1
	s_cmp_eq_u32 s17, s1
	v_add_u32_e32 v13, s16, v13
	s_cbranch_scc0 .LBB1_97
.LBB1_100:
	s_or_b64 exec, exec, s[14:15]
.LBB1_101:
	s_or_b64 exec, exec, s[12:13]
	v_cmp_eq_u32_e32 vcc, 16, v1
	s_and_b64 s[14:15], vcc, s[4:5]
	v_ashrrev_i32_e32 v7, 31, v6
	s_and_saveexec_b64 s[12:13], s[14:15]
	s_cbranch_execz .LBB1_106
; %bb.102:
	v_add3_u32 v9, v15, v14, v18
	v_sub_u32_e32 v9, v9, v16
	v_sub_u32_e32 v9, v9, v17
	v_lshlrev_b64 v[11:12], 3, v[6:7]
	v_mad_u64_u32 v[9:10], s[14:15], s2, v9, v[0:1]
	v_mov_b32_e32 v13, s11
	v_add_co_u32_e32 v11, vcc, s10, v11
	s_add_i32 s16, s0, s2
	v_addc_co_u32_e32 v12, vcc, v13, v12, vcc
	s_mov_b32 s17, s1
	s_branch .LBB1_104
.LBB1_103:                              ;   in Loop: Header=BB1_104 Depth=1
	s_or_b64 exec, exec, s[14:15]
	s_add_i32 s17, s17, -1
	v_add_co_u32_e32 v11, vcc, 8, v11
	v_addc_co_u32_e32 v12, vcc, 0, v12, vcc
	s_cmp_lg_u32 s17, 0
	v_add_u32_e32 v9, s16, v9
	s_cbranch_scc0 .LBB1_106
.LBB1_104:                              ; =>This Inner Loop Header: Depth=1
	global_load_dwordx2 v[13:14], v[11:12], off
	s_waitcnt vmcnt(0)
	v_cmp_lt_f64_e32 vcc, 0, v[13:14]
	s_and_saveexec_b64 s[14:15], vcc
	s_cbranch_execz .LBB1_103
; %bb.105:                              ;   in Loop: Header=BB1_104 Depth=1
	v_ashrrev_i32_e32 v10, 31, v9
	v_lshlrev_b64 v[20:21], 3, v[9:10]
	v_mov_b32_e32 v10, s9
	v_add_co_u32_e32 v20, vcc, s8, v20
	v_addc_co_u32_e32 v21, vcc, v10, v21, vcc
	global_load_dwordx2 v[20:21], v[20:21], off
	s_waitcnt vmcnt(0)
	v_fma_f64 v[2:3], v[13:14], v[20:21], v[2:3]
	s_branch .LBB1_103
.LBB1_106:
	s_or_b64 exec, exec, s[12:13]
	v_cmp_eq_u32_e32 vcc, 17, v1
	s_and_b64 s[14:15], vcc, s[4:5]
	s_and_saveexec_b64 s[12:13], s[14:15]
	s_cbranch_execz .LBB1_111
; %bb.107:
	v_lshlrev_b64 v[9:10], 3, v[6:7]
	v_add3_u32 v6, v15, v19, v18
	v_sub_u32_e32 v6, v6, v16
	v_sub_u32_e32 v6, v6, v17
	v_mad_u64_u32 v[6:7], s[14:15], s2, v6, v[0:1]
	v_mov_b32_e32 v11, s11
	v_add_co_u32_e32 v9, vcc, s10, v9
	s_add_i32 s16, s3, s2
	v_addc_co_u32_e32 v10, vcc, v11, v10, vcc
	s_mov_b32 s17, s1
	s_branch .LBB1_109
.LBB1_108:                              ;   in Loop: Header=BB1_109 Depth=1
	s_or_b64 exec, exec, s[14:15]
	s_add_i32 s17, s17, -1
	v_add_co_u32_e32 v9, vcc, 8, v9
	v_addc_co_u32_e32 v10, vcc, 0, v10, vcc
	s_cmp_lg_u32 s17, 0
	v_add_u32_e32 v6, s16, v6
	s_cbranch_scc0 .LBB1_111
.LBB1_109:                              ; =>This Inner Loop Header: Depth=1
	global_load_dwordx2 v[11:12], v[9:10], off
	s_waitcnt vmcnt(0)
	v_cmp_lt_f64_e32 vcc, 0, v[11:12]
	s_and_saveexec_b64 s[14:15], vcc
	s_cbranch_execz .LBB1_108
; %bb.110:                              ;   in Loop: Header=BB1_109 Depth=1
	v_ashrrev_i32_e32 v7, 31, v6
	v_lshlrev_b64 v[13:14], 3, v[6:7]
	v_mov_b32_e32 v7, s9
	v_add_co_u32_e32 v13, vcc, s8, v13
	v_addc_co_u32_e32 v14, vcc, v7, v14, vcc
	global_load_dwordx2 v[13:14], v[13:14], off
	s_waitcnt vmcnt(0)
	v_fma_f64 v[2:3], v[11:12], v[13:14], v[2:3]
	s_branch .LBB1_108
.LBB1_111:
	s_or_b64 exec, exec, s[12:13]
	v_cmp_eq_u32_e32 vcc, 18, v1
	s_and_saveexec_b64 s[12:13], vcc
	s_cbranch_execz .LBB1_116
; %bb.112:
	v_lshlrev_b64 v[4:5], 3, v[4:5]
	v_mov_b32_e32 v1, s11
	v_add_co_u32_e32 v4, vcc, s10, v4
	v_addc_co_u32_e32 v5, vcc, v1, v5, vcc
	global_load_dwordx2 v[4:5], v[4:5], off
	s_waitcnt vmcnt(0)
	v_cmp_lt_f64_e32 vcc, 0, v[4:5]
	s_and_b64 s[10:11], vcc, s[4:5]
	s_and_saveexec_b64 s[4:5], s[10:11]
	s_cbranch_execz .LBB1_115
; %bb.113:
	s_add_i32 s0, s3, s0
	s_add_i32 s0, s0, s2
	v_mov_b32_e32 v1, s9
.LBB1_114:                              ; =>This Inner Loop Header: Depth=1
	v_ashrrev_i32_e32 v9, 31, v8
	v_lshlrev_b64 v[6:7], 3, v[8:9]
	s_add_i32 s1, s1, -1
	v_add_co_u32_e32 v6, vcc, s8, v6
	v_addc_co_u32_e32 v7, vcc, v1, v7, vcc
	global_load_dwordx2 v[6:7], v[6:7], off
	s_cmp_lg_u32 s1, 0
	v_add_u32_e32 v8, s0, v8
	s_waitcnt vmcnt(0)
	v_fma_f64 v[2:3], v[4:5], v[6:7], v[2:3]
	s_cbranch_scc1 .LBB1_114
.LBB1_115:
	s_or_b64 exec, exec, s[4:5]
.LBB1_116:
	s_or_b64 exec, exec, s[12:13]
	v_ashrrev_i32_e32 v1, 31, v0
	v_lshlrev_b64 v[0:1], 3, v[0:1]
	v_mov_b32_e32 v4, s7
	v_add_co_u32_e32 v0, vcc, s6, v0
	v_addc_co_u32_e32 v1, vcc, v4, v1, vcc
	global_store_dwordx2 v[0:1], v[2:3], off
.LBB1_117:
	s_endpgm
	.section	.rodata,"a",@progbits
	.p2align	6, 0x0
	.amdhsa_kernel _Z11contractionIdEvPKT_S2_PS0_iii
		.amdhsa_group_segment_fixed_size 0
		.amdhsa_private_segment_fixed_size 0
		.amdhsa_kernarg_size 296
		.amdhsa_user_sgpr_count 6
		.amdhsa_user_sgpr_private_segment_buffer 1
		.amdhsa_user_sgpr_dispatch_ptr 0
		.amdhsa_user_sgpr_queue_ptr 0
		.amdhsa_user_sgpr_kernarg_segment_ptr 1
		.amdhsa_user_sgpr_dispatch_id 0
		.amdhsa_user_sgpr_flat_scratch_init 0
		.amdhsa_user_sgpr_private_segment_size 0
		.amdhsa_uses_dynamic_stack 0
		.amdhsa_system_sgpr_private_segment_wavefront_offset 0
		.amdhsa_system_sgpr_workgroup_id_x 1
		.amdhsa_system_sgpr_workgroup_id_y 0
		.amdhsa_system_sgpr_workgroup_id_z 0
		.amdhsa_system_sgpr_workgroup_info 0
		.amdhsa_system_vgpr_workitem_id 0
		.amdhsa_next_free_vgpr 29
		.amdhsa_next_free_sgpr 26
		.amdhsa_reserve_vcc 1
		.amdhsa_reserve_flat_scratch 0
		.amdhsa_float_round_mode_32 0
		.amdhsa_float_round_mode_16_64 0
		.amdhsa_float_denorm_mode_32 3
		.amdhsa_float_denorm_mode_16_64 3
		.amdhsa_dx10_clamp 1
		.amdhsa_ieee_mode 1
		.amdhsa_fp16_overflow 0
		.amdhsa_exception_fp_ieee_invalid_op 0
		.amdhsa_exception_fp_denorm_src 0
		.amdhsa_exception_fp_ieee_div_zero 0
		.amdhsa_exception_fp_ieee_overflow 0
		.amdhsa_exception_fp_ieee_underflow 0
		.amdhsa_exception_fp_ieee_inexact 0
		.amdhsa_exception_int_div_zero 0
	.end_amdhsa_kernel
	.section	.text._Z11contractionIdEvPKT_S2_PS0_iii,"axG",@progbits,_Z11contractionIdEvPKT_S2_PS0_iii,comdat
.Lfunc_end1:
	.size	_Z11contractionIdEvPKT_S2_PS0_iii, .Lfunc_end1-_Z11contractionIdEvPKT_S2_PS0_iii
                                        ; -- End function
	.set _Z11contractionIdEvPKT_S2_PS0_iii.num_vgpr, 29
	.set _Z11contractionIdEvPKT_S2_PS0_iii.num_agpr, 0
	.set _Z11contractionIdEvPKT_S2_PS0_iii.numbered_sgpr, 26
	.set _Z11contractionIdEvPKT_S2_PS0_iii.num_named_barrier, 0
	.set _Z11contractionIdEvPKT_S2_PS0_iii.private_seg_size, 0
	.set _Z11contractionIdEvPKT_S2_PS0_iii.uses_vcc, 1
	.set _Z11contractionIdEvPKT_S2_PS0_iii.uses_flat_scratch, 0
	.set _Z11contractionIdEvPKT_S2_PS0_iii.has_dyn_sized_stack, 0
	.set _Z11contractionIdEvPKT_S2_PS0_iii.has_recursion, 0
	.set _Z11contractionIdEvPKT_S2_PS0_iii.has_indirect_call, 0
	.section	.AMDGPU.csdata,"",@progbits
; Kernel info:
; codeLenInByte = 3992
; TotalNumSgprs: 30
; NumVgprs: 29
; ScratchSize: 0
; MemoryBound: 0
; FloatMode: 240
; IeeeMode: 1
; LDSByteSize: 0 bytes/workgroup (compile time only)
; SGPRBlocks: 3
; VGPRBlocks: 7
; NumSGPRsForWavesPerEU: 30
; NumVGPRsForWavesPerEU: 29
; Occupancy: 8
; WaveLimiterHint : 0
; COMPUTE_PGM_RSRC2:SCRATCH_EN: 0
; COMPUTE_PGM_RSRC2:USER_SGPR: 6
; COMPUTE_PGM_RSRC2:TRAP_HANDLER: 0
; COMPUTE_PGM_RSRC2:TGID_X_EN: 1
; COMPUTE_PGM_RSRC2:TGID_Y_EN: 0
; COMPUTE_PGM_RSRC2:TGID_Z_EN: 0
; COMPUTE_PGM_RSRC2:TIDIG_COMP_CNT: 0
	.section	.AMDGPU.gpr_maximums,"",@progbits
	.set amdgpu.max_num_vgpr, 0
	.set amdgpu.max_num_agpr, 0
	.set amdgpu.max_num_sgpr, 0
	.section	.AMDGPU.csdata,"",@progbits
	.type	__hip_cuid_d433f409f8642661,@object ; @__hip_cuid_d433f409f8642661
	.section	.bss,"aw",@nobits
	.globl	__hip_cuid_d433f409f8642661
__hip_cuid_d433f409f8642661:
	.byte	0                               ; 0x0
	.size	__hip_cuid_d433f409f8642661, 1

	.ident	"AMD clang version 22.0.0git (https://github.com/RadeonOpenCompute/llvm-project roc-7.2.4 26084 f58b06dce1f9c15707c5f808fd002e18c2accf7e)"
	.section	".note.GNU-stack","",@progbits
	.addrsig
	.addrsig_sym __hip_cuid_d433f409f8642661
	.amdgpu_metadata
---
amdhsa.kernels:
  - .args:
      - .actual_access:  read_only
        .address_space:  global
        .offset:         0
        .size:           8
        .value_kind:     global_buffer
      - .actual_access:  read_only
        .address_space:  global
        .offset:         8
        .size:           8
        .value_kind:     global_buffer
      - .actual_access:  write_only
        .address_space:  global
        .offset:         16
        .size:           8
        .value_kind:     global_buffer
      - .offset:         24
        .size:           4
        .value_kind:     by_value
      - .offset:         28
        .size:           4
        .value_kind:     by_value
      - .offset:         32
        .size:           4
        .value_kind:     by_value
      - .offset:         40
        .size:           4
        .value_kind:     hidden_block_count_x
      - .offset:         44
        .size:           4
        .value_kind:     hidden_block_count_y
      - .offset:         48
        .size:           4
        .value_kind:     hidden_block_count_z
      - .offset:         52
        .size:           2
        .value_kind:     hidden_group_size_x
      - .offset:         54
        .size:           2
        .value_kind:     hidden_group_size_y
      - .offset:         56
        .size:           2
        .value_kind:     hidden_group_size_z
      - .offset:         58
        .size:           2
        .value_kind:     hidden_remainder_x
      - .offset:         60
        .size:           2
        .value_kind:     hidden_remainder_y
      - .offset:         62
        .size:           2
        .value_kind:     hidden_remainder_z
      - .offset:         80
        .size:           8
        .value_kind:     hidden_global_offset_x
      - .offset:         88
        .size:           8
        .value_kind:     hidden_global_offset_y
      - .offset:         96
        .size:           8
        .value_kind:     hidden_global_offset_z
      - .offset:         104
        .size:           2
        .value_kind:     hidden_grid_dims
    .group_segment_fixed_size: 0
    .kernarg_segment_align: 8
    .kernarg_segment_size: 296
    .language:       OpenCL C
    .language_version:
      - 2
      - 0
    .max_flat_workgroup_size: 1024
    .name:           _Z11contractionIfEvPKT_S2_PS0_iii
    .private_segment_fixed_size: 0
    .sgpr_count:     30
    .sgpr_spill_count: 0
    .symbol:         _Z11contractionIfEvPKT_S2_PS0_iii.kd
    .uniform_work_group_size: 1
    .uses_dynamic_stack: false
    .vgpr_count:     27
    .vgpr_spill_count: 0
    .wavefront_size: 64
  - .args:
      - .actual_access:  read_only
        .address_space:  global
        .offset:         0
        .size:           8
        .value_kind:     global_buffer
      - .actual_access:  read_only
        .address_space:  global
        .offset:         8
        .size:           8
        .value_kind:     global_buffer
      - .actual_access:  write_only
        .address_space:  global
        .offset:         16
        .size:           8
        .value_kind:     global_buffer
      - .offset:         24
        .size:           4
        .value_kind:     by_value
      - .offset:         28
        .size:           4
        .value_kind:     by_value
      - .offset:         32
        .size:           4
        .value_kind:     by_value
      - .offset:         40
        .size:           4
        .value_kind:     hidden_block_count_x
      - .offset:         44
        .size:           4
        .value_kind:     hidden_block_count_y
      - .offset:         48
        .size:           4
        .value_kind:     hidden_block_count_z
      - .offset:         52
        .size:           2
        .value_kind:     hidden_group_size_x
      - .offset:         54
        .size:           2
        .value_kind:     hidden_group_size_y
      - .offset:         56
        .size:           2
        .value_kind:     hidden_group_size_z
      - .offset:         58
        .size:           2
        .value_kind:     hidden_remainder_x
      - .offset:         60
        .size:           2
        .value_kind:     hidden_remainder_y
      - .offset:         62
        .size:           2
        .value_kind:     hidden_remainder_z
      - .offset:         80
        .size:           8
        .value_kind:     hidden_global_offset_x
      - .offset:         88
        .size:           8
        .value_kind:     hidden_global_offset_y
      - .offset:         96
        .size:           8
        .value_kind:     hidden_global_offset_z
      - .offset:         104
        .size:           2
        .value_kind:     hidden_grid_dims
    .group_segment_fixed_size: 0
    .kernarg_segment_align: 8
    .kernarg_segment_size: 296
    .language:       OpenCL C
    .language_version:
      - 2
      - 0
    .max_flat_workgroup_size: 1024
    .name:           _Z11contractionIdEvPKT_S2_PS0_iii
    .private_segment_fixed_size: 0
    .sgpr_count:     30
    .sgpr_spill_count: 0
    .symbol:         _Z11contractionIdEvPKT_S2_PS0_iii.kd
    .uniform_work_group_size: 1
    .uses_dynamic_stack: false
    .vgpr_count:     29
    .vgpr_spill_count: 0
    .wavefront_size: 64
amdhsa.target:   amdgcn-amd-amdhsa--gfx906
amdhsa.version:
  - 1
  - 2
...

	.end_amdgpu_metadata
